;; amdgpu-corpus repo=ROCm/aiter kind=harvested arch=n/a opt=n/a

/root/src/amdgpu-assembly/repos/ROCm__aiter/hsa/gfx942/fmoe_2stages/fmoe_stage1_bf16_pertokenFp8_doweight_g1u1_48x512_pf3.co:	file format elf64-amdgpu

Disassembly of section .text:

0000000000002a00 <_ZN5aiter53fmoe_stage1_bf16_pertokenFp8_doweight_g1u1_48x512_pf3E>:
	s_and_b32 s1, s1, 0xffff                                   // 000000002A00: 8601FF01 0000FFFF
	s_load_dwordx2 s[8:9], s[0:1], 0x0                         // 000000002A08: C0060200 00000000
	s_load_dwordx2 s[20:21], s[0:1], 0x10                      // 000000002A10: C0060500 00000010
	s_load_dwordx2 s[24:25], s[0:1], 0x20                      // 000000002A18: C0060600 00000020
	s_load_dwordx2 s[48:49], s[0:1], 0x30                      // 000000002A20: C0060C00 00000030
	s_load_dwordx2 s[28:29], s[0:1], 0x40                      // 000000002A28: C0060700 00000040
	s_load_dwordx2 s[32:33], s[0:1], 0x50                      // 000000002A30: C0060800 00000050
	s_load_dwordx2 s[36:37], s[0:1], 0x60                      // 000000002A38: C0060900 00000060
	s_load_dwordx2 s[12:13], s[0:1], 0x70                      // 000000002A40: C0060300 00000070
	s_load_dwordx2 s[44:45], s[0:1], 0x80                      // 000000002A48: C0060B00 00000080
	s_mov_b32 s89, 0                                           // 000000002A50: BED90080
	s_load_dword s64, s[0:1], 0x90                             // 000000002A54: C0021000 00000090
	s_load_dword s65, s[0:1], 0xa0                             // 000000002A5C: C0021040 000000A0
	s_load_dword s66, s[0:1], 0xb0                             // 000000002A64: C0021080 000000B0
	s_load_dword s67, s[0:1], 0xc0                             // 000000002A6C: C00210C0 000000C0
	s_load_dword s68, s[0:1], 0xd0                             // 000000002A74: C0021100 000000D0
	s_load_dword s69, s[0:1], 0xe0                             // 000000002A7C: C0021140 000000E0
	s_load_dword s71, s[0:1], 0xf0                             // 000000002A84: C00211C0 000000F0
	s_load_dword s72, s[0:1], 0x100                            // 000000002A8C: C0021200 00000100
	s_load_dword s74, s[0:1], 0x110                            // 000000002A94: C0021280 00000110
	s_load_dword s76, s[0:1], 0x120                            // 000000002A9C: C0021300 00000120
	s_load_dword s56, s[0:1], 0x130                            // 000000002AA4: C0020E00 00000130
	s_load_dword s88, s[0:1], 0x140                            // 000000002AAC: C0021600 00000140
	s_load_dword s89, s[0:1], 0x150                            // 000000002AB4: C0021640 00000150
	s_load_dwordx2 s[40:41], s[0:1], 0x160                     // 000000002ABC: C0060A00 00000160
	v_lshrrev_b32_e32 v1, 10, v0                               // 000000002AC4: 2002008A
	v_lshrrev_b32_e32 v2, 10, v1                               // 000000002AC8: 2004028A
	v_and_b32_e32 v2, 0x3ff, v2                                // 000000002ACC: 260404FF 000003FF
	v_and_b32_e32 v1, 0x3ff, v1                                // 000000002AD4: 260202FF 000003FF
	v_and_b32_e32 v0, 0x3ff, v0                                // 000000002ADC: 260000FF 000003FF
	v_lshrrev_b32_e32 v3, 6, v0                                // 000000002AE4: 20060086
	v_and_b32_e32 v0, 63, v0                                   // 000000002AE8: 260000BF
	s_mov_b32 s2, s2                                           // 000000002AEC: BE820002
	s_mov_b32 s3, s3                                           // 000000002AF0: BE830003
	s_mov_b32 s4, s4                                           // 000000002AF4: BE840004
	v_readfirstlane_b32 s7, v3                                 // 000000002AF8: 7E0E0503
	s_waitcnt lgkmcnt(0)                                       // 000000002AFC: BF8CC07F
	s_and_b32 s49, s49, 0xffff                                 // 000000002B00: 8631FF31 0000FFFF
	s_load_dword s48, s[48:49], 0x0                            // 000000002B08: C0020C18 00000000
	s_and_b32 s45, s45, 0xffff                                 // 000000002B10: 862DFF2D 0000FFFF
	s_and_b32 s9, s9, 0xffff                                   // 000000002B18: 8609FF09 0000FFFF
	s_mul_i32 s60, s66, s68                                    // 000000002B20: 923C4442
	s_mul_i32 s61, s66, 4                                      // 000000002B24: 923D8442
	s_mov_b32 s22, s60                                         // 000000002B28: BE96003C
	s_mov_b32 s26, -16                                         // 000000002B2C: BE9A00D0
	s_mov_b32 s30, s61                                         // 000000002B30: BE9E003D
	s_mov_b32 s14, 0xc0                                        // 000000002B34: BE8E00FF 000000C0
	s_mov_b32 s38, -16                                         // 000000002B3C: BEA600D0
	s_mov_b32 s10, -16                                         // 000000002B40: BE8A00D0
	s_mov_b32 s34, 0x800                                       // 000000002B44: BEA200FF 00000800
	s_mov_b32 s23, 0x20000                                     // 000000002B4C: BE9700FF 00020000
	s_mov_b32 s27, 0x20000                                     // 000000002B54: BE9B00FF 00020000
	s_mov_b32 s31, 0x20000                                     // 000000002B5C: BE9F00FF 00020000
	s_mov_b32 s35, 0x20000                                     // 000000002B64: BEA300FF 00020000
	s_mov_b32 s15, 0x20000                                     // 000000002B6C: BE8F00FF 00020000
	s_mov_b32 s39, 0x20000                                     // 000000002B74: BEA700FF 00020000
	s_mov_b32 s11, 0x20000                                     // 000000002B7C: BE8B00FF 00020000
	s_and_b32 s21, s21, 0xffff                                 // 000000002B84: 8615FF15 0000FFFF
	s_and_b32 s25, s25, 0xffff                                 // 000000002B8C: 8619FF19 0000FFFF
	s_and_b32 s29, s29, 0xffff                                 // 000000002B94: 861DFF1D 0000FFFF
	s_and_b32 s33, s33, 0xffff                                 // 000000002B9C: 8621FF21 0000FFFF
	s_and_b32 s13, s13, 0xffff                                 // 000000002BA4: 860DFF0D 0000FFFF
	s_and_b32 s37, s37, 0xffff                                 // 000000002BAC: 8625FF25 0000FFFF
	s_or_b32 s21, s21, 0x40000                                 // 000000002BB4: 8715FF15 00040000
	s_or_b32 s25, s25, 0x40000                                 // 000000002BBC: 8719FF19 00040000
	s_or_b32 s29, s29, 0x40000                                 // 000000002BC4: 871DFF1D 00040000
	s_or_b32 s33, s33, 0x40000                                 // 000000002BCC: 8721FF21 00040000
	s_or_b32 s13, s13, 0x40000                                 // 000000002BD4: 870DFF0D 00040000
	s_or_b32 s37, s37, 0x40000                                 // 000000002BDC: 8725FF25 00040000
	s_mov_b32 s42, -16                                         // 000000002BE4: BEAA00D0
	s_mov_b32 s43, 0x20000                                     // 000000002BE8: BEAB00FF 00020000
	s_and_b32 s41, s41, 0xffff                                 // 000000002BF0: 8629FF29 0000FFFF
	s_or_b32 s41, s41, 0x40000                                 // 000000002BF8: 8729FF29 00040000
	v_accvgpr_write_b32 a239, 0                                // 000000002C00: D3D940EF 18000080
	v_mov_b32_e32 v254, 0                                      // 000000002C08: 7FFC0280
	s_waitcnt lgkmcnt(0)                                       // 000000002C0C: BF8CC07F
	s_mul_i32 s60, s3, 48                                      // 000000002C10: 923CB003
	s_cmp_lt_i32 s60, s48                                      // 000000002C14: BF04303C
	s_cbranch_scc0 label_41E4                                  // 000000002C18: BF84415A
	s_mov_b32 s80, 0                                           // 000000002C1C: BED00080
	s_lshr_b32 s81, s64, s88                                   // 000000002C20: 8F515840
	s_mul_i32 s60, s3, 4                                       // 000000002C24: 923C8403
	s_add_u32 s44, s60, s44                                    // 000000002C28: 802C2C3C
	s_addc_u32 s45, 0, s45                                     // 000000002C2C: 822D2D80
	s_load_dword s5, s[44:45], 0x0                             // 000000002C30: C0020156 00000000
	s_mul_i32 s60, s3, 48                                      // 000000002C38: 923CB003
	s_mul_i32 s60, 4, s60                                      // 000000002C3C: 923C3C84
	s_add_u32 s12, s60, s12                                    // 000000002C40: 800C0C3C
	s_addc_u32 s13, 0, s13                                     // 000000002C44: 820D0D80
	v_and_b32_e32 v4, 15, v0                                   // 000000002C48: 2608008F
	v_lshlrev_b32_e32 v4, 2, v4                                // 000000002C4C: 24080882
	buffer_load_dword v31, v4, s[12:15], 0 offen               // 000000002C50: E0501000 80031F04
	v_add_u32_e32 v4, 64, v4                                   // 000000002C58: 680808C0
	buffer_load_dword v32, v4, s[12:15], 0 offen               // 000000002C5C: E0501000 80032004
	v_add_u32_e32 v4, 64, v4                                   // 000000002C64: 680808C0
	buffer_load_dword v33, v4, s[12:15], 0 offen               // 000000002C68: E0501000 80032104
	v_add_u32_e32 v4, 64, v4                                   // 000000002C70: 680808C0
	s_mul_i32 s60, 4, s7                                       // 000000002C74: 923C0784
	v_lshlrev_b32_e32 v4, 4, v0                                // 000000002C78: 24080084
	v_add_u32_e32 v4, s60, v4                                  // 000000002C7C: 6808083C
	buffer_load_dword v3, v4, s[12:15], 0 offen                // 000000002C80: E0501000 80030304
	v_mov_b32_e32 v60, 0                                       // 000000002C88: 7E780280
	v_mov_b32_e32 v156, 0                                      // 000000002C8C: 7F380280
	v_mov_b32_e32 v61, 0                                       // 000000002C90: 7E7A0280
	v_mov_b32_e32 v157, 0                                      // 000000002C94: 7F3A0280
	v_mov_b32_e32 v62, 0                                       // 000000002C98: 7E7C0280
	v_mov_b32_e32 v158, 0                                      // 000000002C9C: 7F3C0280
	v_mov_b32_e32 v63, 0                                       // 000000002CA0: 7E7E0280
	v_mov_b32_e32 v159, 0                                      // 000000002CA4: 7F3E0280
	v_mov_b32_e32 v64, 0                                       // 000000002CA8: 7E800280
	v_mov_b32_e32 v160, 0                                      // 000000002CAC: 7F400280
	v_mov_b32_e32 v65, 0                                       // 000000002CB0: 7E820280
	v_mov_b32_e32 v161, 0                                      // 000000002CB4: 7F420280
	v_mov_b32_e32 v66, 0                                       // 000000002CB8: 7E840280
	v_mov_b32_e32 v162, 0                                      // 000000002CBC: 7F440280
	v_mov_b32_e32 v67, 0                                       // 000000002CC0: 7E860280
	v_mov_b32_e32 v163, 0                                      // 000000002CC4: 7F460280
	v_mov_b32_e32 v68, 0                                       // 000000002CC8: 7E880280
	v_mov_b32_e32 v164, 0                                      // 000000002CCC: 7F480280
	v_mov_b32_e32 v69, 0                                       // 000000002CD0: 7E8A0280
	v_mov_b32_e32 v165, 0                                      // 000000002CD4: 7F4A0280
	v_mov_b32_e32 v70, 0                                       // 000000002CD8: 7E8C0280
	v_mov_b32_e32 v166, 0                                      // 000000002CDC: 7F4C0280
	v_mov_b32_e32 v71, 0                                       // 000000002CE0: 7E8E0280
	v_mov_b32_e32 v167, 0                                      // 000000002CE4: 7F4E0280
	v_mov_b32_e32 v72, 0                                       // 000000002CE8: 7E900280
	v_mov_b32_e32 v168, 0                                      // 000000002CEC: 7F500280
	v_mov_b32_e32 v73, 0                                       // 000000002CF0: 7E920280
	v_mov_b32_e32 v169, 0                                      // 000000002CF4: 7F520280
	v_mov_b32_e32 v74, 0                                       // 000000002CF8: 7E940280
	v_mov_b32_e32 v170, 0                                      // 000000002CFC: 7F540280
	v_mov_b32_e32 v75, 0                                       // 000000002D00: 7E960280
	v_mov_b32_e32 v171, 0                                      // 000000002D04: 7F560280
	v_mov_b32_e32 v76, 0                                       // 000000002D08: 7E980280
	v_mov_b32_e32 v172, 0                                      // 000000002D0C: 7F580280
	v_mov_b32_e32 v77, 0                                       // 000000002D10: 7E9A0280
	v_mov_b32_e32 v173, 0                                      // 000000002D14: 7F5A0280
	v_mov_b32_e32 v78, 0                                       // 000000002D18: 7E9C0280
	v_mov_b32_e32 v174, 0                                      // 000000002D1C: 7F5C0280
	v_mov_b32_e32 v79, 0                                       // 000000002D20: 7E9E0280
	v_mov_b32_e32 v175, 0                                      // 000000002D24: 7F5E0280
	v_mov_b32_e32 v80, 0                                       // 000000002D28: 7EA00280
	v_mov_b32_e32 v176, 0                                      // 000000002D2C: 7F600280
	v_mov_b32_e32 v81, 0                                       // 000000002D30: 7EA20280
	v_mov_b32_e32 v177, 0                                      // 000000002D34: 7F620280
	v_mov_b32_e32 v82, 0                                       // 000000002D38: 7EA40280
	v_mov_b32_e32 v178, 0                                      // 000000002D3C: 7F640280
	v_mov_b32_e32 v83, 0                                       // 000000002D40: 7EA60280
	v_mov_b32_e32 v179, 0                                      // 000000002D44: 7F660280
	v_mov_b32_e32 v84, 0                                       // 000000002D48: 7EA80280
	v_mov_b32_e32 v180, 0                                      // 000000002D4C: 7F680280
	v_mov_b32_e32 v85, 0                                       // 000000002D50: 7EAA0280
	v_mov_b32_e32 v181, 0                                      // 000000002D54: 7F6A0280
	v_mov_b32_e32 v86, 0                                       // 000000002D58: 7EAC0280
	v_mov_b32_e32 v182, 0                                      // 000000002D5C: 7F6C0280
	v_mov_b32_e32 v87, 0                                       // 000000002D60: 7EAE0280
	v_mov_b32_e32 v183, 0                                      // 000000002D64: 7F6E0280
	v_mov_b32_e32 v88, 0                                       // 000000002D68: 7EB00280
	v_mov_b32_e32 v184, 0                                      // 000000002D6C: 7F700280
	v_mov_b32_e32 v89, 0                                       // 000000002D70: 7EB20280
	v_mov_b32_e32 v185, 0                                      // 000000002D74: 7F720280
	v_mov_b32_e32 v90, 0                                       // 000000002D78: 7EB40280
	v_mov_b32_e32 v186, 0                                      // 000000002D7C: 7F740280
	v_mov_b32_e32 v91, 0                                       // 000000002D80: 7EB60280
	v_mov_b32_e32 v187, 0                                      // 000000002D84: 7F760280
	v_mov_b32_e32 v92, 0                                       // 000000002D88: 7EB80280
	v_mov_b32_e32 v188, 0                                      // 000000002D8C: 7F780280
	v_mov_b32_e32 v93, 0                                       // 000000002D90: 7EBA0280
	v_mov_b32_e32 v189, 0                                      // 000000002D94: 7F7A0280
	v_mov_b32_e32 v94, 0                                       // 000000002D98: 7EBC0280
	v_mov_b32_e32 v190, 0                                      // 000000002D9C: 7F7C0280
	v_mov_b32_e32 v95, 0                                       // 000000002DA0: 7EBE0280
	v_mov_b32_e32 v191, 0                                      // 000000002DA4: 7F7E0280
	v_mov_b32_e32 v96, 0                                       // 000000002DA8: 7EC00280
	v_mov_b32_e32 v192, 0                                      // 000000002DAC: 7F800280
	v_mov_b32_e32 v97, 0                                       // 000000002DB0: 7EC20280
	v_mov_b32_e32 v193, 0                                      // 000000002DB4: 7F820280
	v_mov_b32_e32 v98, 0                                       // 000000002DB8: 7EC40280
	v_mov_b32_e32 v194, 0                                      // 000000002DBC: 7F840280
	v_mov_b32_e32 v99, 0                                       // 000000002DC0: 7EC60280
	v_mov_b32_e32 v195, 0                                      // 000000002DC4: 7F860280
	v_mov_b32_e32 v100, 0                                      // 000000002DC8: 7EC80280
	v_mov_b32_e32 v196, 0                                      // 000000002DCC: 7F880280
	v_mov_b32_e32 v101, 0                                      // 000000002DD0: 7ECA0280
	v_mov_b32_e32 v197, 0                                      // 000000002DD4: 7F8A0280
	v_mov_b32_e32 v102, 0                                      // 000000002DD8: 7ECC0280
	v_mov_b32_e32 v198, 0                                      // 000000002DDC: 7F8C0280
	v_mov_b32_e32 v103, 0                                      // 000000002DE0: 7ECE0280
	v_mov_b32_e32 v199, 0                                      // 000000002DE4: 7F8E0280
	v_mov_b32_e32 v104, 0                                      // 000000002DE8: 7ED00280
	v_mov_b32_e32 v200, 0                                      // 000000002DEC: 7F900280
	v_mov_b32_e32 v105, 0                                      // 000000002DF0: 7ED20280
	v_mov_b32_e32 v201, 0                                      // 000000002DF4: 7F920280
	v_mov_b32_e32 v106, 0                                      // 000000002DF8: 7ED40280
	v_mov_b32_e32 v202, 0                                      // 000000002DFC: 7F940280
	v_mov_b32_e32 v107, 0                                      // 000000002E00: 7ED60280
	v_mov_b32_e32 v203, 0                                      // 000000002E04: 7F960280
	v_mov_b32_e32 v108, 0                                      // 000000002E08: 7ED80280
	v_mov_b32_e32 v204, 0                                      // 000000002E0C: 7F980280
	v_mov_b32_e32 v109, 0                                      // 000000002E10: 7EDA0280
	v_mov_b32_e32 v205, 0                                      // 000000002E14: 7F9A0280
	v_mov_b32_e32 v110, 0                                      // 000000002E18: 7EDC0280
	v_mov_b32_e32 v206, 0                                      // 000000002E1C: 7F9C0280
	v_mov_b32_e32 v111, 0                                      // 000000002E20: 7EDE0280
	v_mov_b32_e32 v207, 0                                      // 000000002E24: 7F9E0280
	v_mov_b32_e32 v112, 0                                      // 000000002E28: 7EE00280
	v_mov_b32_e32 v208, 0                                      // 000000002E2C: 7FA00280
	v_mov_b32_e32 v113, 0                                      // 000000002E30: 7EE20280
	v_mov_b32_e32 v209, 0                                      // 000000002E34: 7FA20280
	v_mov_b32_e32 v114, 0                                      // 000000002E38: 7EE40280
	v_mov_b32_e32 v210, 0                                      // 000000002E3C: 7FA40280
	v_mov_b32_e32 v115, 0                                      // 000000002E40: 7EE60280
	v_mov_b32_e32 v211, 0                                      // 000000002E44: 7FA60280
	v_mov_b32_e32 v116, 0                                      // 000000002E48: 7EE80280
	v_mov_b32_e32 v212, 0                                      // 000000002E4C: 7FA80280
	v_mov_b32_e32 v117, 0                                      // 000000002E50: 7EEA0280
	v_mov_b32_e32 v213, 0                                      // 000000002E54: 7FAA0280
	v_mov_b32_e32 v118, 0                                      // 000000002E58: 7EEC0280
	v_mov_b32_e32 v214, 0                                      // 000000002E5C: 7FAC0280
	v_mov_b32_e32 v119, 0                                      // 000000002E60: 7EEE0280
	v_mov_b32_e32 v215, 0                                      // 000000002E64: 7FAE0280
	v_mov_b32_e32 v120, 0                                      // 000000002E68: 7EF00280
	v_mov_b32_e32 v216, 0                                      // 000000002E6C: 7FB00280
	v_mov_b32_e32 v121, 0                                      // 000000002E70: 7EF20280
	v_mov_b32_e32 v217, 0                                      // 000000002E74: 7FB20280
	v_mov_b32_e32 v122, 0                                      // 000000002E78: 7EF40280
	v_mov_b32_e32 v218, 0                                      // 000000002E7C: 7FB40280
	v_mov_b32_e32 v123, 0                                      // 000000002E80: 7EF60280
	v_mov_b32_e32 v219, 0                                      // 000000002E84: 7FB60280
	v_mov_b32_e32 v124, 0                                      // 000000002E88: 7EF80280
	v_mov_b32_e32 v220, 0                                      // 000000002E8C: 7FB80280
	v_mov_b32_e32 v125, 0                                      // 000000002E90: 7EFA0280
	v_mov_b32_e32 v221, 0                                      // 000000002E94: 7FBA0280
	v_mov_b32_e32 v126, 0                                      // 000000002E98: 7EFC0280
	v_mov_b32_e32 v222, 0                                      // 000000002E9C: 7FBC0280
	v_mov_b32_e32 v127, 0                                      // 000000002EA0: 7EFE0280
	v_mov_b32_e32 v223, 0                                      // 000000002EA4: 7FBE0280
	v_mov_b32_e32 v128, 0                                      // 000000002EA8: 7F000280
	v_mov_b32_e32 v224, 0                                      // 000000002EAC: 7FC00280
	v_mov_b32_e32 v129, 0                                      // 000000002EB0: 7F020280
	v_mov_b32_e32 v225, 0                                      // 000000002EB4: 7FC20280
	v_mov_b32_e32 v130, 0                                      // 000000002EB8: 7F040280
	v_mov_b32_e32 v226, 0                                      // 000000002EBC: 7FC40280
	v_mov_b32_e32 v131, 0                                      // 000000002EC0: 7F060280
	v_mov_b32_e32 v227, 0                                      // 000000002EC4: 7FC60280
	v_mov_b32_e32 v132, 0                                      // 000000002EC8: 7F080280
	v_mov_b32_e32 v228, 0                                      // 000000002ECC: 7FC80280
	v_mov_b32_e32 v133, 0                                      // 000000002ED0: 7F0A0280
	v_mov_b32_e32 v229, 0                                      // 000000002ED4: 7FCA0280
	v_mov_b32_e32 v134, 0                                      // 000000002ED8: 7F0C0280
	v_mov_b32_e32 v230, 0                                      // 000000002EDC: 7FCC0280
	v_mov_b32_e32 v135, 0                                      // 000000002EE0: 7F0E0280
	v_mov_b32_e32 v231, 0                                      // 000000002EE4: 7FCE0280
	v_mov_b32_e32 v136, 0                                      // 000000002EE8: 7F100280
	v_mov_b32_e32 v232, 0                                      // 000000002EEC: 7FD00280
	v_mov_b32_e32 v137, 0                                      // 000000002EF0: 7F120280
	v_mov_b32_e32 v233, 0                                      // 000000002EF4: 7FD20280
	v_mov_b32_e32 v138, 0                                      // 000000002EF8: 7F140280
	v_mov_b32_e32 v234, 0                                      // 000000002EFC: 7FD40280
	v_mov_b32_e32 v139, 0                                      // 000000002F00: 7F160280
	v_mov_b32_e32 v235, 0                                      // 000000002F04: 7FD60280
	v_mov_b32_e32 v140, 0                                      // 000000002F08: 7F180280
	v_mov_b32_e32 v236, 0                                      // 000000002F0C: 7FD80280
	v_mov_b32_e32 v141, 0                                      // 000000002F10: 7F1A0280
	v_mov_b32_e32 v237, 0                                      // 000000002F14: 7FDA0280
	v_mov_b32_e32 v142, 0                                      // 000000002F18: 7F1C0280
	v_mov_b32_e32 v238, 0                                      // 000000002F1C: 7FDC0280
	v_mov_b32_e32 v143, 0                                      // 000000002F20: 7F1E0280
	v_mov_b32_e32 v239, 0                                      // 000000002F24: 7FDE0280
	v_mov_b32_e32 v144, 0                                      // 000000002F28: 7F200280
	v_mov_b32_e32 v240, 0                                      // 000000002F2C: 7FE00280
	v_mov_b32_e32 v145, 0                                      // 000000002F30: 7F220280
	v_mov_b32_e32 v241, 0                                      // 000000002F34: 7FE20280
	v_mov_b32_e32 v146, 0                                      // 000000002F38: 7F240280
	v_mov_b32_e32 v242, 0                                      // 000000002F3C: 7FE40280
	v_mov_b32_e32 v147, 0                                      // 000000002F40: 7F260280
	v_mov_b32_e32 v243, 0                                      // 000000002F44: 7FE60280
	v_mov_b32_e32 v148, 0                                      // 000000002F48: 7F280280
	v_mov_b32_e32 v244, 0                                      // 000000002F4C: 7FE80280
	v_mov_b32_e32 v149, 0                                      // 000000002F50: 7F2A0280
	v_mov_b32_e32 v245, 0                                      // 000000002F54: 7FEA0280
	v_mov_b32_e32 v150, 0                                      // 000000002F58: 7F2C0280
	v_mov_b32_e32 v246, 0                                      // 000000002F5C: 7FEC0280
	v_mov_b32_e32 v151, 0                                      // 000000002F60: 7F2E0280
	v_mov_b32_e32 v247, 0                                      // 000000002F64: 7FEE0280
	v_mov_b32_e32 v152, 0                                      // 000000002F68: 7F300280
	v_mov_b32_e32 v248, 0                                      // 000000002F6C: 7FF00280
	v_mov_b32_e32 v153, 0                                      // 000000002F70: 7F320280
	v_mov_b32_e32 v249, 0                                      // 000000002F74: 7FF20280
	v_mov_b32_e32 v154, 0                                      // 000000002F78: 7F340280
	v_mov_b32_e32 v250, 0                                      // 000000002F7C: 7FF40280
	v_mov_b32_e32 v155, 0                                      // 000000002F80: 7F360280
	v_mov_b32_e32 v251, 0                                      // 000000002F84: 7FF60280
	s_mul_i32 s60, s2, 0x400                                   // 000000002F88: 923CFF02 00000400
	s_cmp_eq_u32 s88, 0                                        // 000000002F90: BF068058
	s_cselect_b32 s61, 1, 2                                    // 000000002F94: 853D8281
	s_mul_i32 s60, s60, s61                                    // 000000002F98: 923C3D3C
	s_mov_b32 s90, s8                                          // 000000002F9C: BEDA0008
	s_mov_b32 s91, s9                                          // 000000002FA0: BEDB0009
	s_add_u32 s8, s60, s8                                      // 000000002FA4: 8008083C
	s_addc_u32 s9, 0, s9                                       // 000000002FA8: 82090980
	v_lshrrev_b32_e32 v4, 4, v0                                // 000000002FAC: 20080084
	v_mul_lo_u32 v20, 34, v4                                   // 000000002FB0: D2850014 000208A2
	v_and_b32_e32 v4, 15, v0                                   // 000000002FB8: 2608008F
	v_mul_lo_u32 v5, 2, v4                                     // 000000002FBC: D2850005 00020882
	v_add_u32_e32 v20, v5, v20                                 // 000000002FC4: 68282905
	s_mul_i32 s60, s7, 0x88                                    // 000000002FC8: 923CFF07 00000088
	v_add_u32_e32 v20, s60, v20                                // 000000002FD0: 6828283C
	v_lshlrev_b32_e32 v20, 2, v20                              // 000000002FD4: 24282882
	v_and_b32_e32 v4, 31, v0                                   // 000000002FD8: 2608009F
	v_lshrrev_b32_e32 v4, 1, v4                                // 000000002FDC: 20080881
	v_mul_lo_u32 v21, 34, v4                                   // 000000002FE0: D2850015 000208A2
	v_lshrrev_b32_e32 v4, 5, v0                                // 000000002FE8: 20080085
	v_mul_lo_u32 v4, 8, v4                                     // 000000002FEC: D2850004 00020888
	v_add_u32_e32 v21, v21, v4                                 // 000000002FF4: 682A0915
	v_and_b32_e32 v5, 1, v0                                    // 000000002FF8: 260A0081
	v_add_u32_e32 v21, v5, v21                                 // 000000002FFC: 682A2B05
	s_mul_i32 s60, s7, 2                                       // 000000003000: 923C8207
	v_add_u32_e32 v21, s60, v21                                // 000000003004: 682A2A3C
	v_lshlrev_b32_e32 v21, 2, v21                              // 000000003008: 242A2A82
	s_mul_i32 s60, s7, 0x620                                   // 00000000300C: 923CFF07 00000620
	s_add_u32 s48, 0, s60                                      // 000000003014: 80303C80
	s_add_u32 s49, 0x1880, s48                                 // 000000003018: 803130FF 00001880
	s_add_u32 s50, 0x1880, s49                                 // 000000003020: 803231FF 00001880
	v_lshrrev_b32_e32 v4, 4, v0                                // 000000003028: 20080084
	v_lshlrev_b32_e32 v5, 2, v4                                // 00000000302C: 240A0882
	v_and_b32_e32 v4, 15, v0                                   // 000000003030: 2608008F
	v_lshrrev_b32_e32 v6, 2, v4                                // 000000003034: 200C0882
	v_lshlrev_b32_e32 v6, 5, v6                                // 000000003038: 240C0C85
	v_add_u32_e32 v5, v6, v5                                   // 00000000303C: 680A0B06
	v_and_b32_e32 v4, 3, v0                                    // 000000003040: 26080083
	v_mul_u32_u24_e32 v6, 0x188, v4                            // 000000003044: 100C08FF 00000188
	v_add_u32_e32 v5, v6, v5                                   // 00000000304C: 680A0B06
	v_lshlrev_b32_e32 v2, 2, v5                                // 000000003050: 24040A82
	s_waitcnt lgkmcnt(0)                                       // 000000003054: BF8CC07F
	s_mul_i32 s60, s2, 0x200                                   // 000000003058: 923CFF02 00000200
	s_mul_i32 s60, s60, s69                                    // 000000003060: 923C453C
	s_mul_i32 s61, s5, s72                                     // 000000003064: 923D4805
	s_add_u32 s60, s61, s60                                    // 000000003068: 803C3C3D
	s_add_u32 s24, s60, s24                                    // 00000000306C: 8018183C
	s_addc_u32 s25, 0, s25                                     // 000000003070: 82191980
	s_lshr_b32 s60, s64, s88                                   // 000000003074: 8F3C5840
	s_mul_i32 s60, s4, s60                                     // 000000003078: 923C3C04
	s_lshr_b32 s60, s60, 7                                     // 00000000307C: 8F3C873C
	s_mul_i32 s60, s60, 0x800                                  // 000000003080: 923CFF3C 00000800
	s_add_u32 s24, s60, s24                                    // 000000003088: 8018183C
	s_addc_u32 s25, 0, s25                                     // 00000000308C: 82191980
	s_lshr_b32 s60, s69, s88                                   // 000000003090: 8F3C5845
	s_mul_i32 s60, s4, s60                                     // 000000003094: 923C3C04
	s_add_u32 s20, s60, s20                                    // 000000003098: 8014143C
	s_addc_u32 s21, 0, s21                                     // 00000000309C: 82151580
	s_mul_i32 s60, s7, 16                                      // 0000000030A0: 923C9007
	s_mul_i32 s60, s60, s69                                    // 0000000030A4: 923C453C
	v_lshlrev_b32_e32 v49, 4, v0                               // 0000000030A8: 24620084
	v_add_u32_e32 v49, s60, v49                                // 0000000030AC: 6862623C
	s_mul_i32 s60, 64, s69                                     // 0000000030B0: 923C45C0
	v_add_u32_e32 v50, s60, v49                                // 0000000030B4: 6864623C
	v_add_u32_e32 v51, s60, v50                                // 0000000030B8: 6866643C
	v_add_u32_e32 v52, s60, v51                                // 0000000030BC: 6868663C
	v_add_u32_e32 v53, s60, v52                                // 0000000030C0: 686A683C
	v_add_u32_e32 v54, s60, v53                                // 0000000030C4: 686C6A3C
	v_add_u32_e32 v55, s60, v54                                // 0000000030C8: 686E6C3C
	v_add_u32_e32 v56, s60, v55                                // 0000000030CC: 68706E3C
	s_mov_b32 s84, s24                                         // 0000000030D0: BED40018
	s_mov_b32 s85, s25                                         // 0000000030D4: BED50019
	s_mov_b32 s86, s26                                         // 0000000030D8: BED6001A
	s_mov_b32 s87, s27                                         // 0000000030DC: BED7001B
	s_mul_i32 s60, s69, s65                                    // 0000000030E0: 923C4145
	s_add_u32 s84, s60, s84                                    // 0000000030E4: 8054543C
	s_addc_u32 s85, 0, s85                                     // 0000000030E8: 82555580
	v_lshrrev_b32_e32 v4, 4, v0                                // 0000000030EC: 20080084
	v_lshlrev_b32_e32 v5, 2, v4                                // 0000000030F0: 240A0882
	v_and_b32_e32 v4, 15, v0                                   // 0000000030F4: 2608008F
	v_lshrrev_b32_e32 v6, 2, v4                                // 0000000030F8: 200C0882
	v_lshlrev_b32_e32 v6, 6, v6                                // 0000000030FC: 240C0C86
	v_add_u32_e32 v5, v6, v5                                   // 000000003100: 680A0B06
	v_and_b32_e32 v4, 3, v0                                    // 000000003104: 26080083
	v_add_u32_e32 v5, v4, v5                                   // 000000003108: 680A0B04
	v_lshlrev_b32_e32 v22, 2, v5                               // 00000000310C: 242C0A82
	v_add_u32_e32 v23, 0x400, v22                              // 000000003110: 682E2CFF 00000400
	s_mul_i32 s60, s7, 16                                      // 000000003118: 923C9007
	s_mul_i32 s60, s60, 4                                      // 00000000311C: 923C843C
	v_add_u32_e32 v22, s60, v22                                // 000000003120: 682C2C3C
	v_add_u32_e32 v23, s60, v23                                // 000000003124: 682E2E3C
	s_mul_i32 s60, s2, 0x200                                   // 000000003128: 923CFF02 00000200
	s_mul_i32 s60, s60, 4                                      // 000000003130: 923C843C
	s_mul_i32 s61, s5, s74                                     // 000000003134: 923D4A05
	s_add_u32 s61, s61, s60                                    // 000000003138: 803D3C3D
	s_add_u32 s32, s61, s32                                    // 00000000313C: 8020203D
	s_addc_u32 s33, 0, s33                                     // 000000003140: 82212180
	s_mov_b32 s57, 0x80                                        // 000000003144: BEB900FF 00000080
	s_mov_b32 s58, 0x800                                       // 00000000314C: BEBA00FF 00000800
	s_mov_b32 s83, s58                                         // 000000003154: BED3003A
	s_mov_b32 s52, 0x7060302                                   // 000000003158: BEB400FF 07060302
	s_mov_b32 s53, 0x400                                       // 000000003160: BEB500FF 00000400
	s_mov_b32 s54, 0x40100                                     // 000000003168: BEB600FF 00040100
	s_mov_b32 s55, 0x4020100                                   // 000000003170: BEB700FF 04020100
	s_mov_b32 s6, 0x3fb8aa3b                                   // 000000003178: BE8600FF 3FB8AA3B
	s_mov_b32 s78, 0xbd92220c                                  // 000000003180: BECE00FF BD92220C
	s_mov_b32 s79, 0xbd92220c                                  // 000000003188: BECF00FF BD92220C
	s_mov_b32 m0, s48                                          // 000000003190: BEFC0030
	v_mov_b32_e32 v1, 0xbfcc4231                               // 000000003194: 7E0202FF BFCC4231
	v_mov_b32_e32 v17, 0xffff0000                              // 00000000319C: 7E2202FF FFFF0000
	v_mov_b32_e32 v18, 0x7fff0000                              // 0000000031A4: 7E2402FF 7FFF0000
	v_mov_b32_e32 v19, 0x7fff                                  // 0000000031AC: 7E2602FF 00007FFF
	s_waitcnt vmcnt(0) expcnt(0) lgkmcnt(0)                    // 0000000031B4: BF8C0000
	s_mul_i32 s60, s3, 48                                      // 0000000031B8: 923CB003
	s_mul_i32 s60, 4, s60                                      // 0000000031BC: 923C3C84
	s_add_u32 s40, s60, s40                                    // 0000000031C0: 8028283C
	s_addc_u32 s41, 0, s41                                     // 0000000031C4: 82292980
	v_and_b32_e32 v4, 15, v0                                   // 0000000031C8: 2608008F
	v_lshlrev_b32_e32 v4, 2, v4                                // 0000000031CC: 24080882
	buffer_load_dword v252, v4, s[40:43], 0 offen              // 0000000031D0: E0501000 800AFC04
	buffer_load_dword v253, v4, s[40:43], 0 offen offset:64    // 0000000031D8: E0501040 800AFD04
	buffer_load_dword v254, v4, s[40:43], 0 offen offset:128   // 0000000031E0: E0501080 800AFE04
	v_lshrrev_b32_e32 v4, 5, v0                                // 0000000031E8: 20080085
	v_xor_b32_e32 v5, 1, v4                                    // 0000000031EC: 2A0A0881
	v_readlane_b32 s82, v3, 0                                  // 0000000031F0: D2890052 00010103
	s_and_b32 s82, s82, 0xffffff                               // 0000000031F8: 8652FF52 00FFFFFF
	v_mul_lo_u32 v6, v5, s82                                   // 000000003200: D2850006 0000A505
	v_readlane_b32 s82, v3, 1                                  // 000000003208: D2890052 00010303
	s_and_b32 s82, s82, 0xffffff                               // 000000003210: 8652FF52 00FFFFFF
	v_mul_lo_u32 v7, v4, s82                                   // 000000003218: D2850007 0000A504
	v_add_u32_e32 v43, v6, v7                                  // 000000003220: 68560F06
	v_mul_lo_u32 v43, v43, s68                                 // 000000003224: D285002B 0000892B
	v_readlane_b32 s82, v3, 2                                  // 00000000322C: D2890052 00010503
	s_and_b32 s82, s82, 0xffffff                               // 000000003234: 8652FF52 00FFFFFF
	v_mul_lo_u32 v6, v5, s82                                   // 00000000323C: D2850006 0000A505
	v_readlane_b32 s82, v3, 3                                  // 000000003244: D2890052 00010703
	s_and_b32 s82, s82, 0xffffff                               // 00000000324C: 8652FF52 00FFFFFF
	v_mul_lo_u32 v7, v4, s82                                   // 000000003254: D2850007 0000A504
	v_add_u32_e32 v44, v6, v7                                  // 00000000325C: 68580F06
	v_mul_lo_u32 v44, v44, s68                                 // 000000003260: D285002C 0000892C
	v_readlane_b32 s82, v3, 4                                  // 000000003268: D2890052 00010903
	s_and_b32 s82, s82, 0xffffff                               // 000000003270: 8652FF52 00FFFFFF
	v_mul_lo_u32 v6, v5, s82                                   // 000000003278: D2850006 0000A505
	v_readlane_b32 s82, v3, 5                                  // 000000003280: D2890052 00010B03
	s_and_b32 s82, s82, 0xffffff                               // 000000003288: 8652FF52 00FFFFFF
	v_mul_lo_u32 v7, v4, s82                                   // 000000003290: D2850007 0000A504
	v_add_u32_e32 v45, v6, v7                                  // 000000003298: 685A0F06
	v_mul_lo_u32 v45, v45, s68                                 // 00000000329C: D285002D 0000892D
	v_readlane_b32 s82, v3, 6                                  // 0000000032A4: D2890052 00010D03
	s_and_b32 s82, s82, 0xffffff                               // 0000000032AC: 8652FF52 00FFFFFF
	v_mul_lo_u32 v6, v5, s82                                   // 0000000032B4: D2850006 0000A505
	v_readlane_b32 s82, v3, 7                                  // 0000000032BC: D2890052 00010F03
	s_and_b32 s82, s82, 0xffffff                               // 0000000032C4: 8652FF52 00FFFFFF
	v_mul_lo_u32 v7, v4, s82                                   // 0000000032CC: D2850007 0000A504
	v_add_u32_e32 v46, v6, v7                                  // 0000000032D4: 685C0F06
	v_mul_lo_u32 v46, v46, s68                                 // 0000000032D8: D285002E 0000892E
	v_readlane_b32 s82, v3, 8                                  // 0000000032E0: D2890052 00011103
	s_and_b32 s82, s82, 0xffffff                               // 0000000032E8: 8652FF52 00FFFFFF
	v_mul_lo_u32 v6, v5, s82                                   // 0000000032F0: D2850006 0000A505
	v_readlane_b32 s82, v3, 9                                  // 0000000032F8: D2890052 00011303
	s_and_b32 s82, s82, 0xffffff                               // 000000003300: 8652FF52 00FFFFFF
	v_mul_lo_u32 v7, v4, s82                                   // 000000003308: D2850007 0000A504
	v_add_u32_e32 v47, v6, v7                                  // 000000003310: 685E0F06
	v_mul_lo_u32 v47, v47, s68                                 // 000000003314: D285002F 0000892F
	v_readlane_b32 s82, v3, 10                                 // 00000000331C: D2890052 00011503
	s_and_b32 s82, s82, 0xffffff                               // 000000003324: 8652FF52 00FFFFFF
	v_mul_lo_u32 v6, v5, s82                                   // 00000000332C: D2850006 0000A505
	v_readlane_b32 s82, v3, 11                                 // 000000003334: D2890052 00011703
	s_and_b32 s82, s82, 0xffffff                               // 00000000333C: 8652FF52 00FFFFFF
	v_mul_lo_u32 v7, v4, s82                                   // 000000003344: D2850007 0000A504
	v_add_u32_e32 v48, v6, v7                                  // 00000000334C: 68600F06
	v_mul_lo_u32 v48, v48, s68                                 // 000000003350: D2850030 00008930
	v_and_b32_e32 v4, 31, v0                                   // 000000003358: 2608009F
	v_lshlrev_b32_e32 v4, 2, v4                                // 00000000335C: 24080882
	v_add_u32_e32 v43, v43, v4                                 // 000000003360: 6856092B
	v_add_u32_e32 v44, v44, v4                                 // 000000003364: 6858092C
	v_add_u32_e32 v45, v45, v4                                 // 000000003368: 685A092D
	v_add_u32_e32 v46, v46, v4                                 // 00000000336C: 685C092E
	v_add_u32_e32 v47, v47, v4                                 // 000000003370: 685E092F
	v_add_u32_e32 v48, v48, v4                                 // 000000003374: 68600930
	v_and_b32_e32 v31, 0xffffff, v31                           // 000000003378: 263E3EFF 00FFFFFF
	v_lshlrev_b32_e32 v31, 2, v31                              // 000000003380: 243E3E82
	v_and_b32_e32 v32, 0xffffff, v32                           // 000000003384: 264040FF 00FFFFFF
	v_lshlrev_b32_e32 v32, 2, v32                              // 00000000338C: 24404082
	v_and_b32_e32 v33, 0xffffff, v33                           // 000000003390: 264242FF 00FFFFFF
	v_lshlrev_b32_e32 v33, 2, v33                              // 000000003398: 24424282
	s_lshl_b32 s3, s66, 2                                      // 00000000339C: 8E038242
	buffer_load_dword v34, v31, s[28:31], 0 offen              // 0000000033A0: E0501000 8007221F
	buffer_load_dword v35, v32, s[28:31], 0 offen              // 0000000033A8: E0501000 80072320
	buffer_load_dword v36, v33, s[28:31], 0 offen              // 0000000033B0: E0501000 80072421
	buffer_load_dword v25, v22, s[32:35], 0 offen              // 0000000033B8: E0501000 80081916
	buffer_load_dword v26, v23, s[32:35], 0 offen              // 0000000033C0: E0501000 80081A17
	s_mul_i32 s60, 4, s65                                      // 0000000033C8: 923C4184
	s_add_u32 s32, s60, s32                                    // 0000000033CC: 8020203C
	s_addc_u32 s33, 0, s33                                     // 0000000033D0: 82212180
	buffer_load_dword v28, v22, s[32:35], 0 offen              // 0000000033D4: E0501000 80081C16
	buffer_load_dword v29, v23, s[32:35], 0 offen              // 0000000033DC: E0501000 80081D17
	buffer_load_dword v43, s[20:23], 0 offen lds               // 0000000033E4: E0511000 8005002B
	s_add_u32 m0, 0x100, s48                                   // 0000000033EC: 807C30FF 00000100
	buffer_load_dword v44, s[20:23], 0 offen lds               // 0000000033F4: E0511000 8005002C
	s_add_u32 m0, 0x200, s48                                   // 0000000033FC: 807C30FF 00000200
	buffer_load_dword v45, s[20:23], 0 offen lds               // 000000003404: E0511000 8005002D
	s_add_u32 m0, 0x300, s48                                   // 00000000340C: 807C30FF 00000300
	buffer_load_dword v46, s[20:23], 0 offen lds               // 000000003414: E0511000 8005002E
	s_add_u32 m0, 0x400, s48                                   // 00000000341C: 807C30FF 00000400
	buffer_load_dword v47, s[20:23], 0 offen lds               // 000000003424: E0511000 8005002F
	s_add_u32 m0, 0x500, s48                                   // 00000000342C: 807C30FF 00000500
	buffer_load_dword v48, s[20:23], 0 offen lds               // 000000003434: E0511000 80050030
	s_add_u32 m0, 0, s49                                       // 00000000343C: 807C3180
	s_add_u32 s20, s57, s20                                    // 000000003440: 80141439
	s_addc_u32 s21, 0, s21                                     // 000000003444: 82151580
	buffer_load_dwordx4 a[48:51], v49, s[24:27], 0 offen       // 000000003448: E05C1000 80863031
	buffer_load_dwordx4 a[52:55], v49, s[24:27], 0 offen offset:1024// 000000003450: E05C1400 80863431
	buffer_load_dwordx4 a[56:59], v50, s[24:27], 0 offen       // 000000003458: E05C1000 80863832
	buffer_load_dwordx4 a[60:63], v50, s[24:27], 0 offen offset:1024// 000000003460: E05C1400 80863C32
	buffer_load_dwordx4 a[64:67], v51, s[24:27], 0 offen       // 000000003468: E05C1000 80864033
	buffer_load_dwordx4 a[68:71], v51, s[24:27], 0 offen offset:1024// 000000003470: E05C1400 80864433
	buffer_load_dwordx4 a[72:75], v52, s[24:27], 0 offen       // 000000003478: E05C1000 80864834
	buffer_load_dwordx4 a[76:79], v52, s[24:27], 0 offen offset:1024// 000000003480: E05C1400 80864C34
	buffer_load_dwordx4 a[80:83], v53, s[24:27], 0 offen       // 000000003488: E05C1000 80865035
	buffer_load_dwordx4 a[84:87], v53, s[24:27], 0 offen offset:1024// 000000003490: E05C1400 80865435
	buffer_load_dwordx4 a[88:91], v54, s[24:27], 0 offen       // 000000003498: E05C1000 80865836
	buffer_load_dwordx4 a[92:95], v54, s[24:27], 0 offen offset:1024// 0000000034A0: E05C1400 80865C36
	buffer_load_dwordx4 a[96:99], v55, s[24:27], 0 offen       // 0000000034A8: E05C1000 80866037
	buffer_load_dwordx4 a[100:103], v55, s[24:27], 0 offen offset:1024// 0000000034B0: E05C1400 80866437
	buffer_load_dwordx4 a[104:107], v56, s[24:27], 0 offen     // 0000000034B8: E05C1000 80866838
	buffer_load_dwordx4 a[108:111], v56, s[24:27], 0 offen offset:1024// 0000000034C0: E05C1400 80866C38
	s_add_u32 s24, s58, s24                                    // 0000000034C8: 8018183A
	s_addc_u32 s25, 0, s25                                     // 0000000034CC: 82191980
	buffer_load_dword v43, s[20:23], 0 offen lds               // 0000000034D0: E0511000 8005002B
	s_add_u32 m0, 0x100, s49                                   // 0000000034D8: 807C31FF 00000100
	buffer_load_dword v44, s[20:23], 0 offen lds               // 0000000034E0: E0511000 8005002C
	s_add_u32 m0, 0x200, s49                                   // 0000000034E8: 807C31FF 00000200
	buffer_load_dword v45, s[20:23], 0 offen lds               // 0000000034F0: E0511000 8005002D
	s_add_u32 m0, 0x300, s49                                   // 0000000034F8: 807C31FF 00000300
	buffer_load_dword v46, s[20:23], 0 offen lds               // 000000003500: E0511000 8005002E
	s_add_u32 m0, 0x400, s49                                   // 000000003508: 807C31FF 00000400
	buffer_load_dword v47, s[20:23], 0 offen lds               // 000000003510: E0511000 8005002F
	s_add_u32 m0, 0x500, s49                                   // 000000003518: 807C31FF 00000500
	buffer_load_dword v48, s[20:23], 0 offen lds               // 000000003520: E0511000 80050030
	s_add_u32 m0, 0, s50                                       // 000000003528: 807C3280
	s_add_u32 s20, s57, s20                                    // 00000000352C: 80141439
	s_addc_u32 s21, 0, s21                                     // 000000003530: 82151580
	buffer_load_dwordx4 a[112:115], v49, s[84:87], 0 offen     // 000000003534: E05C1000 80957031
	buffer_load_dwordx4 a[116:119], v49, s[84:87], 0 offen offset:1024// 00000000353C: E05C1400 80957431
	buffer_load_dwordx4 a[120:123], v50, s[84:87], 0 offen     // 000000003544: E05C1000 80957832
	buffer_load_dwordx4 a[124:127], v50, s[84:87], 0 offen offset:1024// 00000000354C: E05C1400 80957C32
	buffer_load_dwordx4 a[128:131], v51, s[84:87], 0 offen     // 000000003554: E05C1000 80958033
	buffer_load_dwordx4 a[132:135], v51, s[84:87], 0 offen offset:1024// 00000000355C: E05C1400 80958433
	buffer_load_dwordx4 a[136:139], v52, s[84:87], 0 offen     // 000000003564: E05C1000 80958834
	buffer_load_dwordx4 a[140:143], v52, s[84:87], 0 offen offset:1024// 00000000356C: E05C1400 80958C34
	buffer_load_dwordx4 a[144:147], v53, s[84:87], 0 offen     // 000000003574: E05C1000 80959035
	buffer_load_dwordx4 a[148:151], v53, s[84:87], 0 offen offset:1024// 00000000357C: E05C1400 80959435
	buffer_load_dwordx4 a[152:155], v54, s[84:87], 0 offen     // 000000003584: E05C1000 80959836
	buffer_load_dwordx4 a[156:159], v54, s[84:87], 0 offen offset:1024// 00000000358C: E05C1400 80959C36
	buffer_load_dwordx4 a[160:163], v55, s[84:87], 0 offen     // 000000003594: E05C1000 8095A037
	buffer_load_dwordx4 a[164:167], v55, s[84:87], 0 offen offset:1024// 00000000359C: E05C1400 8095A437
	buffer_load_dwordx4 a[168:171], v56, s[84:87], 0 offen     // 0000000035A4: E05C1000 8095A838
	buffer_load_dwordx4 a[172:175], v56, s[84:87], 0 offen offset:1024// 0000000035AC: E05C1400 8095AC38
	s_add_u32 s84, s83, s84                                    // 0000000035B4: 80545453
	s_addc_u32 s85, 0, s85                                     // 0000000035B8: 82555580
	s_waitcnt vmcnt(38)                                        // 0000000035BC: BF8C8F76
	s_barrier                                                  // 0000000035C0: BF8A0000
	ds_read_b128 a[0:3], v2                                    // 0000000035C4: DBFE0000 00000002
	ds_read_b128 a[4:7], v2 offset:64                          // 0000000035CC: DBFE0040 04000002
	ds_read_b128 a[8:11], v2 offset:512                        // 0000000035D4: DBFE0200 08000002
	ds_read_b128 a[12:15], v2 offset:576                       // 0000000035DC: DBFE0240 0C000002
	ds_read_b128 a[16:19], v2 offset:1024                      // 0000000035E4: DBFE0400 10000002
	ds_read_b128 a[20:23], v2 offset:1088                      // 0000000035EC: DBFE0440 14000002
	s_cmp_lt_i32 s7, 2                                         // 0000000035F4: BF048207
	s_cbranch_scc0 label_2273                                  // 0000000035F8: BF841F71

00000000000035fc <label_02FF>:
	s_waitcnt vmcnt(22) lgkmcnt(0)                             // 0000000035FC: BF8C4076
	v_mfma_f32_16x16x32_fp8_fp8 v[60:63], a[48:49], a[0:1], v[60:63]// 000000003600: D3F3003C 1CF20130
	v_mfma_f32_16x16x32_fp8_fp8 v[60:63], a[50:51], a[2:3], v[60:63]// 000000003608: D3F3003C 1CF20532
	buffer_load_dwordx4 a[176:179], v49, s[24:27], 0 offen     // 000000003610: E05C1000 8086B031
	v_mfma_f32_16x16x32_fp8_fp8 v[60:63], a[52:53], a[4:5], v[60:63]// 000000003618: D3F3003C 1CF20934
	v_mfma_f32_16x16x32_fp8_fp8 v[60:63], a[54:55], a[6:7], v[60:63]// 000000003620: D3F3003C 1CF20D36
	v_mfma_f32_16x16x32_fp8_fp8 v[72:75], a[56:57], a[0:1], v[72:75]// 000000003628: D3F30048 1D220138
	v_mfma_f32_16x16x32_fp8_fp8 v[72:75], a[58:59], a[2:3], v[72:75]// 000000003630: D3F30048 1D22053A
	buffer_load_dwordx4 a[180:183], v49, s[24:27], 0 offen offset:1024// 000000003638: E05C1400 8086B431
	v_mfma_f32_16x16x32_fp8_fp8 v[72:75], a[60:61], a[4:5], v[72:75]// 000000003640: D3F30048 1D22093C
	v_mfma_f32_16x16x32_fp8_fp8 v[72:75], a[62:63], a[6:7], v[72:75]// 000000003648: D3F30048 1D220D3E
	v_mfma_f32_16x16x32_fp8_fp8 v[84:87], a[64:65], a[0:1], v[84:87]// 000000003650: D3F30054 1D520140
	v_mfma_f32_16x16x32_fp8_fp8 v[84:87], a[66:67], a[2:3], v[84:87]// 000000003658: D3F30054 1D520542
	buffer_load_dwordx4 a[184:187], v50, s[24:27], 0 offen     // 000000003660: E05C1000 8086B832
	v_mfma_f32_16x16x32_fp8_fp8 v[84:87], a[68:69], a[4:5], v[84:87]// 000000003668: D3F30054 1D520944
	v_mfma_f32_16x16x32_fp8_fp8 v[84:87], a[70:71], a[6:7], v[84:87]// 000000003670: D3F30054 1D520D46
	v_mfma_f32_16x16x32_fp8_fp8 v[96:99], a[72:73], a[0:1], v[96:99]// 000000003678: D3F30060 1D820148
	v_mfma_f32_16x16x32_fp8_fp8 v[96:99], a[74:75], a[2:3], v[96:99]// 000000003680: D3F30060 1D82054A
	buffer_load_dwordx4 a[188:191], v50, s[24:27], 0 offen offset:1024// 000000003688: E05C1400 8086BC32
	v_mfma_f32_16x16x32_fp8_fp8 v[96:99], a[76:77], a[4:5], v[96:99]// 000000003690: D3F30060 1D82094C
	v_mfma_f32_16x16x32_fp8_fp8 v[96:99], a[78:79], a[6:7], v[96:99]// 000000003698: D3F30060 1D820D4E
	v_mfma_f32_16x16x32_fp8_fp8 v[108:111], a[80:81], a[0:1], v[108:111]// 0000000036A0: D3F3006C 1DB20150
	v_mfma_f32_16x16x32_fp8_fp8 v[108:111], a[82:83], a[2:3], v[108:111]// 0000000036A8: D3F3006C 1DB20552
	buffer_load_dwordx4 a[192:195], v51, s[24:27], 0 offen     // 0000000036B0: E05C1000 8086C033
	v_mfma_f32_16x16x32_fp8_fp8 v[108:111], a[84:85], a[4:5], v[108:111]// 0000000036B8: D3F3006C 1DB20954
	v_mfma_f32_16x16x32_fp8_fp8 v[108:111], a[86:87], a[6:7], v[108:111]// 0000000036C0: D3F3006C 1DB20D56
	v_mfma_f32_16x16x32_fp8_fp8 v[120:123], a[88:89], a[0:1], v[120:123]// 0000000036C8: D3F30078 1DE20158
	v_mfma_f32_16x16x32_fp8_fp8 v[120:123], a[90:91], a[2:3], v[120:123]// 0000000036D0: D3F30078 1DE2055A
	buffer_load_dwordx4 a[196:199], v51, s[24:27], 0 offen offset:1024// 0000000036D8: E05C1400 8086C433
	v_mfma_f32_16x16x32_fp8_fp8 v[120:123], a[92:93], a[4:5], v[120:123]// 0000000036E0: D3F30078 1DE2095C
	v_mfma_f32_16x16x32_fp8_fp8 v[120:123], a[94:95], a[6:7], v[120:123]// 0000000036E8: D3F30078 1DE20D5E
	v_mfma_f32_16x16x32_fp8_fp8 v[132:135], a[96:97], a[0:1], v[132:135]// 0000000036F0: D3F30084 1E120160
	v_mfma_f32_16x16x32_fp8_fp8 v[132:135], a[98:99], a[2:3], v[132:135]// 0000000036F8: D3F30084 1E120562
	buffer_load_dwordx4 a[200:203], v52, s[24:27], 0 offen     // 000000003700: E05C1000 8086C834
	v_mfma_f32_16x16x32_fp8_fp8 v[132:135], a[100:101], a[4:5], v[132:135]// 000000003708: D3F30084 1E120964
	v_mfma_f32_16x16x32_fp8_fp8 v[132:135], a[102:103], a[6:7], v[132:135]// 000000003710: D3F30084 1E120D66
	v_mfma_f32_16x16x32_fp8_fp8 v[144:147], a[104:105], a[0:1], v[144:147]// 000000003718: D3F30090 1E420168
	v_mfma_f32_16x16x32_fp8_fp8 v[144:147], a[106:107], a[2:3], v[144:147]// 000000003720: D3F30090 1E42056A
	buffer_load_dwordx4 a[204:207], v52, s[24:27], 0 offen offset:1024// 000000003728: E05C1400 8086CC34
	v_mfma_f32_16x16x32_fp8_fp8 v[144:147], a[108:109], a[4:5], v[144:147]// 000000003730: D3F30090 1E42096C
	v_mfma_f32_16x16x32_fp8_fp8 v[144:147], a[110:111], a[6:7], v[144:147]// 000000003738: D3F30090 1E420D6E
	v_mfma_f32_16x16x32_fp8_fp8 v[64:67], a[48:49], a[8:9], v[64:67]// 000000003740: D3F30040 1D021130
	v_mfma_f32_16x16x32_fp8_fp8 v[64:67], a[50:51], a[10:11], v[64:67]// 000000003748: D3F30040 1D021532
	buffer_load_dwordx4 a[208:211], v53, s[24:27], 0 offen     // 000000003750: E05C1000 8086D035
	v_mfma_f32_16x16x32_fp8_fp8 v[64:67], a[52:53], a[12:13], v[64:67]// 000000003758: D3F30040 1D021934
	v_mfma_f32_16x16x32_fp8_fp8 v[64:67], a[54:55], a[14:15], v[64:67]// 000000003760: D3F30040 1D021D36
	v_mfma_f32_16x16x32_fp8_fp8 v[76:79], a[56:57], a[8:9], v[76:79]// 000000003768: D3F3004C 1D321138
	v_mfma_f32_16x16x32_fp8_fp8 v[76:79], a[58:59], a[10:11], v[76:79]// 000000003770: D3F3004C 1D32153A
	buffer_load_dwordx4 a[212:215], v53, s[24:27], 0 offen offset:1024// 000000003778: E05C1400 8086D435
	v_mfma_f32_16x16x32_fp8_fp8 v[76:79], a[60:61], a[12:13], v[76:79]// 000000003780: D3F3004C 1D32193C
	v_mfma_f32_16x16x32_fp8_fp8 v[76:79], a[62:63], a[14:15], v[76:79]// 000000003788: D3F3004C 1D321D3E
	v_mfma_f32_16x16x32_fp8_fp8 v[88:91], a[64:65], a[8:9], v[88:91]// 000000003790: D3F30058 1D621140
	v_mfma_f32_16x16x32_fp8_fp8 v[88:91], a[66:67], a[10:11], v[88:91]// 000000003798: D3F30058 1D621542
	buffer_load_dwordx4 a[216:219], v54, s[24:27], 0 offen     // 0000000037A0: E05C1000 8086D836
	v_mfma_f32_16x16x32_fp8_fp8 v[88:91], a[68:69], a[12:13], v[88:91]// 0000000037A8: D3F30058 1D621944
	v_mfma_f32_16x16x32_fp8_fp8 v[88:91], a[70:71], a[14:15], v[88:91]// 0000000037B0: D3F30058 1D621D46
	v_mfma_f32_16x16x32_fp8_fp8 v[100:103], a[72:73], a[8:9], v[100:103]// 0000000037B8: D3F30064 1D921148
	v_mfma_f32_16x16x32_fp8_fp8 v[100:103], a[74:75], a[10:11], v[100:103]// 0000000037C0: D3F30064 1D92154A
	buffer_load_dwordx4 a[220:223], v54, s[24:27], 0 offen offset:1024// 0000000037C8: E05C1400 8086DC36
	v_mfma_f32_16x16x32_fp8_fp8 v[100:103], a[76:77], a[12:13], v[100:103]// 0000000037D0: D3F30064 1D92194C
	v_mfma_f32_16x16x32_fp8_fp8 v[100:103], a[78:79], a[14:15], v[100:103]// 0000000037D8: D3F30064 1D921D4E
	v_mfma_f32_16x16x32_fp8_fp8 v[112:115], a[80:81], a[8:9], v[112:115]// 0000000037E0: D3F30070 1DC21150
	v_mfma_f32_16x16x32_fp8_fp8 v[112:115], a[82:83], a[10:11], v[112:115]// 0000000037E8: D3F30070 1DC21552
	buffer_load_dwordx4 a[224:227], v55, s[24:27], 0 offen     // 0000000037F0: E05C1000 8086E037
	v_mfma_f32_16x16x32_fp8_fp8 v[112:115], a[84:85], a[12:13], v[112:115]// 0000000037F8: D3F30070 1DC21954
	v_mfma_f32_16x16x32_fp8_fp8 v[112:115], a[86:87], a[14:15], v[112:115]// 000000003800: D3F30070 1DC21D56
	v_mfma_f32_16x16x32_fp8_fp8 v[124:127], a[88:89], a[8:9], v[124:127]// 000000003808: D3F3007C 1DF21158
	v_mfma_f32_16x16x32_fp8_fp8 v[124:127], a[90:91], a[10:11], v[124:127]// 000000003810: D3F3007C 1DF2155A
	buffer_load_dwordx4 a[228:231], v55, s[24:27], 0 offen offset:1024// 000000003818: E05C1400 8086E437
	v_mfma_f32_16x16x32_fp8_fp8 v[124:127], a[92:93], a[12:13], v[124:127]// 000000003820: D3F3007C 1DF2195C
	v_mfma_f32_16x16x32_fp8_fp8 v[124:127], a[94:95], a[14:15], v[124:127]// 000000003828: D3F3007C 1DF21D5E
	v_mfma_f32_16x16x32_fp8_fp8 v[136:139], a[96:97], a[8:9], v[136:139]// 000000003830: D3F30088 1E221160
	v_mfma_f32_16x16x32_fp8_fp8 v[136:139], a[98:99], a[10:11], v[136:139]// 000000003838: D3F30088 1E221562
	buffer_load_dwordx4 a[232:235], v56, s[24:27], 0 offen     // 000000003840: E05C1000 8086E838
	v_mfma_f32_16x16x32_fp8_fp8 v[136:139], a[100:101], a[12:13], v[136:139]// 000000003848: D3F30088 1E221964
	v_mfma_f32_16x16x32_fp8_fp8 v[136:139], a[102:103], a[14:15], v[136:139]// 000000003850: D3F30088 1E221D66
	v_mfma_f32_16x16x32_fp8_fp8 v[148:151], a[104:105], a[8:9], v[148:151]// 000000003858: D3F30094 1E521168
	v_mfma_f32_16x16x32_fp8_fp8 v[148:151], a[106:107], a[10:11], v[148:151]// 000000003860: D3F30094 1E52156A
	buffer_load_dwordx4 a[236:239], v56, s[24:27], 0 offen offset:1024// 000000003868: E05C1400 8086EC38
	buffer_load_dword v43, s[20:23], 0 offen lds               // 000000003870: E0511000 8005002B
	s_add_u32 m0, 0x100, s50                                   // 000000003878: 807C32FF 00000100
	v_mfma_f32_16x16x32_fp8_fp8 v[148:151], a[108:109], a[12:13], v[148:151]// 000000003880: D3F30094 1E52196C
	v_mfma_f32_16x16x32_fp8_fp8 v[148:151], a[110:111], a[14:15], v[148:151]// 000000003888: D3F30094 1E521D6E
	buffer_load_dword v44, s[20:23], 0 offen lds               // 000000003890: E0511000 8005002C
	s_add_u32 m0, 0x200, s50                                   // 000000003898: 807C32FF 00000200
	v_mfma_f32_16x16x32_fp8_fp8 v[68:71], a[48:49], a[16:17], v[68:71]// 0000000038A0: D3F30044 1D122130
	v_mfma_f32_16x16x32_fp8_fp8 v[68:71], a[50:51], a[18:19], v[68:71]// 0000000038A8: D3F30044 1D122532
	buffer_load_dword v45, s[20:23], 0 offen lds               // 0000000038B0: E0511000 8005002D
	s_add_u32 m0, 0x300, s50                                   // 0000000038B8: 807C32FF 00000300
	v_mfma_f32_16x16x32_fp8_fp8 v[68:71], a[52:53], a[20:21], v[68:71]// 0000000038C0: D3F30044 1D122934
	v_mfma_f32_16x16x32_fp8_fp8 v[68:71], a[54:55], a[22:23], v[68:71]// 0000000038C8: D3F30044 1D122D36
	buffer_load_dword v46, s[20:23], 0 offen lds               // 0000000038D0: E0511000 8005002E
	s_add_u32 m0, 0x400, s50                                   // 0000000038D8: 807C32FF 00000400
	v_mfma_f32_16x16x32_fp8_fp8 v[80:83], a[56:57], a[16:17], v[80:83]// 0000000038E0: D3F30050 1D422138
	v_mfma_f32_16x16x32_fp8_fp8 v[80:83], a[58:59], a[18:19], v[80:83]// 0000000038E8: D3F30050 1D42253A
	buffer_load_dword v47, s[20:23], 0 offen lds               // 0000000038F0: E0511000 8005002F
	s_add_u32 m0, 0x500, s50                                   // 0000000038F8: 807C32FF 00000500
	v_mfma_f32_16x16x32_fp8_fp8 v[80:83], a[60:61], a[20:21], v[80:83]// 000000003900: D3F30050 1D42293C
	v_mfma_f32_16x16x32_fp8_fp8 v[80:83], a[62:63], a[22:23], v[80:83]// 000000003908: D3F30050 1D422D3E
	buffer_load_dword v48, s[20:23], 0 offen lds               // 000000003910: E0511000 80050030
	s_add_u32 m0, 0, s48                                       // 000000003918: 807C3080
	v_mfma_f32_16x16x32_fp8_fp8 v[92:95], a[64:65], a[16:17], v[92:95]// 00000000391C: D3F3005C 1D722140
	v_mfma_f32_16x16x32_fp8_fp8 v[92:95], a[66:67], a[18:19], v[92:95]// 000000003924: D3F3005C 1D722542
	v_mfma_f32_16x16x32_fp8_fp8 v[92:95], a[68:69], a[20:21], v[92:95]// 00000000392C: D3F3005C 1D722944
	v_mfma_f32_16x16x32_fp8_fp8 v[92:95], a[70:71], a[22:23], v[92:95]// 000000003934: D3F3005C 1D722D46
	v_mfma_f32_16x16x32_fp8_fp8 v[104:107], a[72:73], a[16:17], v[104:107]// 00000000393C: D3F30068 1DA22148
	v_mfma_f32_16x16x32_fp8_fp8 v[104:107], a[74:75], a[18:19], v[104:107]// 000000003944: D3F30068 1DA2254A
	v_mfma_f32_16x16x32_fp8_fp8 v[104:107], a[76:77], a[20:21], v[104:107]// 00000000394C: D3F30068 1DA2294C
	v_mfma_f32_16x16x32_fp8_fp8 v[104:107], a[78:79], a[22:23], v[104:107]// 000000003954: D3F30068 1DA22D4E
	v_mfma_f32_16x16x32_fp8_fp8 v[116:119], a[80:81], a[16:17], v[116:119]// 00000000395C: D3F30074 1DD22150
	v_mfma_f32_16x16x32_fp8_fp8 v[116:119], a[82:83], a[18:19], v[116:119]// 000000003964: D3F30074 1DD22552
	v_mfma_f32_16x16x32_fp8_fp8 v[116:119], a[84:85], a[20:21], v[116:119]// 00000000396C: D3F30074 1DD22954
	v_mfma_f32_16x16x32_fp8_fp8 v[116:119], a[86:87], a[22:23], v[116:119]// 000000003974: D3F30074 1DD22D56
	v_mfma_f32_16x16x32_fp8_fp8 v[128:131], a[88:89], a[16:17], v[128:131]// 00000000397C: D3F30080 1E022158
	v_mfma_f32_16x16x32_fp8_fp8 v[128:131], a[90:91], a[18:19], v[128:131]// 000000003984: D3F30080 1E02255A
	v_mfma_f32_16x16x32_fp8_fp8 v[128:131], a[92:93], a[20:21], v[128:131]// 00000000398C: D3F30080 1E02295C
	v_mfma_f32_16x16x32_fp8_fp8 v[128:131], a[94:95], a[22:23], v[128:131]// 000000003994: D3F30080 1E022D5E
	v_mfma_f32_16x16x32_fp8_fp8 v[140:143], a[96:97], a[16:17], v[140:143]// 00000000399C: D3F3008C 1E322160
	v_mfma_f32_16x16x32_fp8_fp8 v[140:143], a[98:99], a[18:19], v[140:143]// 0000000039A4: D3F3008C 1E322562
	v_mfma_f32_16x16x32_fp8_fp8 v[140:143], a[100:101], a[20:21], v[140:143]// 0000000039AC: D3F3008C 1E322964
	v_mfma_f32_16x16x32_fp8_fp8 v[140:143], a[102:103], a[22:23], v[140:143]// 0000000039B4: D3F3008C 1E322D66
	v_mfma_f32_16x16x32_fp8_fp8 v[152:155], a[104:105], a[16:17], v[152:155]// 0000000039BC: D3F30098 1E622168
	v_mfma_f32_16x16x32_fp8_fp8 v[152:155], a[106:107], a[18:19], v[152:155]// 0000000039C4: D3F30098 1E62256A
	v_mfma_f32_16x16x32_fp8_fp8 v[152:155], a[108:109], a[20:21], v[152:155]// 0000000039CC: D3F30098 1E62296C
	v_mfma_f32_16x16x32_fp8_fp8 v[152:155], a[110:111], a[22:23], v[152:155]// 0000000039D4: D3F30098 1E622D6E
	s_waitcnt vmcnt(22)                                        // 0000000039DC: BF8C4F76
	s_barrier                                                  // 0000000039E0: BF8A0000
	v_mfma_f32_16x16x32_fp8_fp8 v[156:159], a[112:113], a[0:1], v[156:159]// 0000000039E4: D3F3009C 1E720170
	v_mfma_f32_16x16x32_fp8_fp8 v[156:159], a[114:115], a[2:3], v[156:159]// 0000000039EC: D3F3009C 1E720572
	buffer_load_dwordx4 a[48:51], v49, s[84:87], 0 offen       // 0000000039F4: E05C1000 80953031
	v_mfma_f32_16x16x32_fp8_fp8 v[156:159], a[116:117], a[4:5], v[156:159]// 0000000039FC: D3F3009C 1E720974
	v_mfma_f32_16x16x32_fp8_fp8 v[156:159], a[118:119], a[6:7], v[156:159]// 000000003A04: D3F3009C 1E720D76
	ds_read_b128 a[24:27], v2 offset:6272                      // 000000003A0C: DBFE1880 18000002
	ds_read_b128 a[28:31], v2 offset:6336                      // 000000003A14: DBFE18C0 1C000002
	v_mfma_f32_16x16x32_fp8_fp8 v[168:171], a[120:121], a[0:1], v[168:171]// 000000003A1C: D3F300A8 1EA20178
	v_mfma_f32_16x16x32_fp8_fp8 v[168:171], a[122:123], a[2:3], v[168:171]// 000000003A24: D3F300A8 1EA2057A
	buffer_load_dwordx4 a[52:55], v49, s[84:87], 0 offen offset:1024// 000000003A2C: E05C1400 80953431
	v_mfma_f32_16x16x32_fp8_fp8 v[168:171], a[124:125], a[4:5], v[168:171]// 000000003A34: D3F300A8 1EA2097C
	v_mfma_f32_16x16x32_fp8_fp8 v[168:171], a[126:127], a[6:7], v[168:171]// 000000003A3C: D3F300A8 1EA20D7E
	ds_read_b128 a[32:35], v2 offset:6784                      // 000000003A44: DBFE1A80 20000002
	ds_read_b128 a[36:39], v2 offset:6848                      // 000000003A4C: DBFE1AC0 24000002
	v_mfma_f32_16x16x32_fp8_fp8 v[180:183], a[128:129], a[0:1], v[180:183]// 000000003A54: D3F300B4 1ED20180
	v_mfma_f32_16x16x32_fp8_fp8 v[180:183], a[130:131], a[2:3], v[180:183]// 000000003A5C: D3F300B4 1ED20582
	buffer_load_dwordx4 a[56:59], v50, s[84:87], 0 offen       // 000000003A64: E05C1000 80953832
	v_mfma_f32_16x16x32_fp8_fp8 v[180:183], a[132:133], a[4:5], v[180:183]// 000000003A6C: D3F300B4 1ED20984
	v_mfma_f32_16x16x32_fp8_fp8 v[180:183], a[134:135], a[6:7], v[180:183]// 000000003A74: D3F300B4 1ED20D86
	ds_read_b128 a[40:43], v2 offset:7296                      // 000000003A7C: DBFE1C80 28000002
	ds_read_b128 a[44:47], v2 offset:7360                      // 000000003A84: DBFE1CC0 2C000002
	v_mfma_f32_16x16x32_fp8_fp8 v[192:195], a[136:137], a[0:1], v[192:195]// 000000003A8C: D3F300C0 1F020188
	v_mfma_f32_16x16x32_fp8_fp8 v[192:195], a[138:139], a[2:3], v[192:195]// 000000003A94: D3F300C0 1F02058A
	buffer_load_dwordx4 a[60:63], v50, s[84:87], 0 offen offset:1024// 000000003A9C: E05C1400 80953C32
	v_mfma_f32_16x16x32_fp8_fp8 v[192:195], a[140:141], a[4:5], v[192:195]// 000000003AA4: D3F300C0 1F02098C
	v_mfma_f32_16x16x32_fp8_fp8 v[192:195], a[142:143], a[6:7], v[192:195]// 000000003AAC: D3F300C0 1F020D8E
	v_mfma_f32_16x16x32_fp8_fp8 v[204:207], a[144:145], a[0:1], v[204:207]// 000000003AB4: D3F300CC 1F320190
	v_mfma_f32_16x16x32_fp8_fp8 v[204:207], a[146:147], a[2:3], v[204:207]// 000000003ABC: D3F300CC 1F320592
	buffer_load_dwordx4 a[64:67], v51, s[84:87], 0 offen       // 000000003AC4: E05C1000 80954033
	v_mfma_f32_16x16x32_fp8_fp8 v[204:207], a[148:149], a[4:5], v[204:207]// 000000003ACC: D3F300CC 1F320994
	v_mfma_f32_16x16x32_fp8_fp8 v[204:207], a[150:151], a[6:7], v[204:207]// 000000003AD4: D3F300CC 1F320D96
	v_mfma_f32_16x16x32_fp8_fp8 v[216:219], a[152:153], a[0:1], v[216:219]// 000000003ADC: D3F300D8 1F620198
	v_mfma_f32_16x16x32_fp8_fp8 v[216:219], a[154:155], a[2:3], v[216:219]// 000000003AE4: D3F300D8 1F62059A
	buffer_load_dwordx4 a[68:71], v51, s[84:87], 0 offen offset:1024// 000000003AEC: E05C1400 80954433
	v_mfma_f32_16x16x32_fp8_fp8 v[216:219], a[156:157], a[4:5], v[216:219]// 000000003AF4: D3F300D8 1F62099C
	v_mfma_f32_16x16x32_fp8_fp8 v[216:219], a[158:159], a[6:7], v[216:219]// 000000003AFC: D3F300D8 1F620D9E
	v_mfma_f32_16x16x32_fp8_fp8 v[228:231], a[160:161], a[0:1], v[228:231]// 000000003B04: D3F300E4 1F9201A0
	v_mfma_f32_16x16x32_fp8_fp8 v[228:231], a[162:163], a[2:3], v[228:231]// 000000003B0C: D3F300E4 1F9205A2
	buffer_load_dwordx4 a[72:75], v52, s[84:87], 0 offen       // 000000003B14: E05C1000 80954834
	v_mfma_f32_16x16x32_fp8_fp8 v[228:231], a[164:165], a[4:5], v[228:231]// 000000003B1C: D3F300E4 1F9209A4
	v_mfma_f32_16x16x32_fp8_fp8 v[228:231], a[166:167], a[6:7], v[228:231]// 000000003B24: D3F300E4 1F920DA6
	v_mfma_f32_16x16x32_fp8_fp8 v[240:243], a[168:169], a[0:1], v[240:243]// 000000003B2C: D3F300F0 1FC201A8
	v_mfma_f32_16x16x32_fp8_fp8 v[240:243], a[170:171], a[2:3], v[240:243]// 000000003B34: D3F300F0 1FC205AA
	buffer_load_dwordx4 a[76:79], v52, s[84:87], 0 offen offset:1024// 000000003B3C: E05C1400 80954C34
	v_mfma_f32_16x16x32_fp8_fp8 v[240:243], a[172:173], a[4:5], v[240:243]// 000000003B44: D3F300F0 1FC209AC
	v_mfma_f32_16x16x32_fp8_fp8 v[240:243], a[174:175], a[6:7], v[240:243]// 000000003B4C: D3F300F0 1FC20DAE
	v_mfma_f32_16x16x32_fp8_fp8 v[160:163], a[112:113], a[8:9], v[160:163]// 000000003B54: D3F300A0 1E821170
	v_mfma_f32_16x16x32_fp8_fp8 v[160:163], a[114:115], a[10:11], v[160:163]// 000000003B5C: D3F300A0 1E821572
	buffer_load_dwordx4 a[80:83], v53, s[84:87], 0 offen       // 000000003B64: E05C1000 80955035
	v_mfma_f32_16x16x32_fp8_fp8 v[160:163], a[116:117], a[12:13], v[160:163]// 000000003B6C: D3F300A0 1E821974
	v_mfma_f32_16x16x32_fp8_fp8 v[160:163], a[118:119], a[14:15], v[160:163]// 000000003B74: D3F300A0 1E821D76
	v_mfma_f32_16x16x32_fp8_fp8 v[172:175], a[120:121], a[8:9], v[172:175]// 000000003B7C: D3F300AC 1EB21178
	v_mfma_f32_16x16x32_fp8_fp8 v[172:175], a[122:123], a[10:11], v[172:175]// 000000003B84: D3F300AC 1EB2157A
	buffer_load_dwordx4 a[84:87], v53, s[84:87], 0 offen offset:1024// 000000003B8C: E05C1400 80955435
	v_mfma_f32_16x16x32_fp8_fp8 v[172:175], a[124:125], a[12:13], v[172:175]// 000000003B94: D3F300AC 1EB2197C
	v_mfma_f32_16x16x32_fp8_fp8 v[172:175], a[126:127], a[14:15], v[172:175]// 000000003B9C: D3F300AC 1EB21D7E
	v_mfma_f32_16x16x32_fp8_fp8 v[184:187], a[128:129], a[8:9], v[184:187]// 000000003BA4: D3F300B8 1EE21180
	v_mfma_f32_16x16x32_fp8_fp8 v[184:187], a[130:131], a[10:11], v[184:187]// 000000003BAC: D3F300B8 1EE21582
	buffer_load_dwordx4 a[88:91], v54, s[84:87], 0 offen       // 000000003BB4: E05C1000 80955836
	v_mfma_f32_16x16x32_fp8_fp8 v[184:187], a[132:133], a[12:13], v[184:187]// 000000003BBC: D3F300B8 1EE21984
	v_mfma_f32_16x16x32_fp8_fp8 v[184:187], a[134:135], a[14:15], v[184:187]// 000000003BC4: D3F300B8 1EE21D86
	v_mfma_f32_16x16x32_fp8_fp8 v[196:199], a[136:137], a[8:9], v[196:199]// 000000003BCC: D3F300C4 1F121188
	v_mfma_f32_16x16x32_fp8_fp8 v[196:199], a[138:139], a[10:11], v[196:199]// 000000003BD4: D3F300C4 1F12158A
	buffer_load_dwordx4 a[92:95], v54, s[84:87], 0 offen offset:1024// 000000003BDC: E05C1400 80955C36
	v_mfma_f32_16x16x32_fp8_fp8 v[196:199], a[140:141], a[12:13], v[196:199]// 000000003BE4: D3F300C4 1F12198C
	v_mfma_f32_16x16x32_fp8_fp8 v[196:199], a[142:143], a[14:15], v[196:199]// 000000003BEC: D3F300C4 1F121D8E
	v_mfma_f32_16x16x32_fp8_fp8 v[208:211], a[144:145], a[8:9], v[208:211]// 000000003BF4: D3F300D0 1F421190
	v_mfma_f32_16x16x32_fp8_fp8 v[208:211], a[146:147], a[10:11], v[208:211]// 000000003BFC: D3F300D0 1F421592
	buffer_load_dwordx4 a[96:99], v55, s[84:87], 0 offen       // 000000003C04: E05C1000 80956037
	v_mfma_f32_16x16x32_fp8_fp8 v[208:211], a[148:149], a[12:13], v[208:211]// 000000003C0C: D3F300D0 1F421994
	v_mfma_f32_16x16x32_fp8_fp8 v[208:211], a[150:151], a[14:15], v[208:211]// 000000003C14: D3F300D0 1F421D96
	v_mfma_f32_16x16x32_fp8_fp8 v[220:223], a[152:153], a[8:9], v[220:223]// 000000003C1C: D3F300DC 1F721198
	v_mfma_f32_16x16x32_fp8_fp8 v[220:223], a[154:155], a[10:11], v[220:223]// 000000003C24: D3F300DC 1F72159A
	buffer_load_dwordx4 a[100:103], v55, s[84:87], 0 offen offset:1024// 000000003C2C: E05C1400 80956437
	v_mfma_f32_16x16x32_fp8_fp8 v[220:223], a[156:157], a[12:13], v[220:223]// 000000003C34: D3F300DC 1F72199C
	v_mfma_f32_16x16x32_fp8_fp8 v[220:223], a[158:159], a[14:15], v[220:223]// 000000003C3C: D3F300DC 1F721D9E
	v_mfma_f32_16x16x32_fp8_fp8 v[232:235], a[160:161], a[8:9], v[232:235]// 000000003C44: D3F300E8 1FA211A0
	v_mfma_f32_16x16x32_fp8_fp8 v[232:235], a[162:163], a[10:11], v[232:235]// 000000003C4C: D3F300E8 1FA215A2
	buffer_load_dwordx4 a[104:107], v56, s[84:87], 0 offen     // 000000003C54: E05C1000 80956838
	v_mfma_f32_16x16x32_fp8_fp8 v[232:235], a[164:165], a[12:13], v[232:235]// 000000003C5C: D3F300E8 1FA219A4
	v_mfma_f32_16x16x32_fp8_fp8 v[232:235], a[166:167], a[14:15], v[232:235]// 000000003C64: D3F300E8 1FA21DA6
	v_mfma_f32_16x16x32_fp8_fp8 v[244:247], a[168:169], a[8:9], v[244:247]// 000000003C6C: D3F300F4 1FD211A8
	v_mfma_f32_16x16x32_fp8_fp8 v[244:247], a[170:171], a[10:11], v[244:247]// 000000003C74: D3F300F4 1FD215AA
	buffer_load_dwordx4 a[108:111], v56, s[84:87], 0 offen offset:1024// 000000003C7C: E05C1400 80956C38
	v_mfma_f32_16x16x32_fp8_fp8 v[244:247], a[172:173], a[12:13], v[244:247]// 000000003C84: D3F300F4 1FD219AC
	v_mfma_f32_16x16x32_fp8_fp8 v[244:247], a[174:175], a[14:15], v[244:247]// 000000003C8C: D3F300F4 1FD21DAE
	v_mfma_f32_16x16x32_fp8_fp8 v[164:167], a[112:113], a[16:17], v[164:167]// 000000003C94: D3F300A4 1E922170
	v_mfma_f32_16x16x32_fp8_fp8 v[164:167], a[114:115], a[18:19], v[164:167]// 000000003C9C: D3F300A4 1E922572
	v_mfma_f32_16x16x32_fp8_fp8 v[164:167], a[116:117], a[20:21], v[164:167]// 000000003CA4: D3F300A4 1E922974
	v_mfma_f32_16x16x32_fp8_fp8 v[164:167], a[118:119], a[22:23], v[164:167]// 000000003CAC: D3F300A4 1E922D76
	v_mfma_f32_16x16x32_fp8_fp8 v[176:179], a[120:121], a[16:17], v[176:179]// 000000003CB4: D3F300B0 1EC22178
	v_mfma_f32_16x16x32_fp8_fp8 v[176:179], a[122:123], a[18:19], v[176:179]// 000000003CBC: D3F300B0 1EC2257A
	v_mfma_f32_16x16x32_fp8_fp8 v[176:179], a[124:125], a[20:21], v[176:179]// 000000003CC4: D3F300B0 1EC2297C
	v_mfma_f32_16x16x32_fp8_fp8 v[176:179], a[126:127], a[22:23], v[176:179]// 000000003CCC: D3F300B0 1EC22D7E
	v_mfma_f32_16x16x32_fp8_fp8 v[188:191], a[128:129], a[16:17], v[188:191]// 000000003CD4: D3F300BC 1EF22180
	v_mfma_f32_16x16x32_fp8_fp8 v[188:191], a[130:131], a[18:19], v[188:191]// 000000003CDC: D3F300BC 1EF22582
	v_mfma_f32_16x16x32_fp8_fp8 v[188:191], a[132:133], a[20:21], v[188:191]// 000000003CE4: D3F300BC 1EF22984
	v_mfma_f32_16x16x32_fp8_fp8 v[188:191], a[134:135], a[22:23], v[188:191]// 000000003CEC: D3F300BC 1EF22D86
	v_mfma_f32_16x16x32_fp8_fp8 v[200:203], a[136:137], a[16:17], v[200:203]// 000000003CF4: D3F300C8 1F222188
	v_mfma_f32_16x16x32_fp8_fp8 v[200:203], a[138:139], a[18:19], v[200:203]// 000000003CFC: D3F300C8 1F22258A
	v_mfma_f32_16x16x32_fp8_fp8 v[200:203], a[140:141], a[20:21], v[200:203]// 000000003D04: D3F300C8 1F22298C
	v_mfma_f32_16x16x32_fp8_fp8 v[200:203], a[142:143], a[22:23], v[200:203]// 000000003D0C: D3F300C8 1F222D8E
	v_mfma_f32_16x16x32_fp8_fp8 v[212:215], a[144:145], a[16:17], v[212:215]// 000000003D14: D3F300D4 1F522190
	v_mfma_f32_16x16x32_fp8_fp8 v[212:215], a[146:147], a[18:19], v[212:215]// 000000003D1C: D3F300D4 1F522592
	v_mfma_f32_16x16x32_fp8_fp8 v[212:215], a[148:149], a[20:21], v[212:215]// 000000003D24: D3F300D4 1F522994
	v_mfma_f32_16x16x32_fp8_fp8 v[212:215], a[150:151], a[22:23], v[212:215]// 000000003D2C: D3F300D4 1F522D96
	v_mfma_f32_16x16x32_fp8_fp8 v[224:227], a[152:153], a[16:17], v[224:227]// 000000003D34: D3F300E0 1F822198
	v_mfma_f32_16x16x32_fp8_fp8 v[224:227], a[154:155], a[18:19], v[224:227]// 000000003D3C: D3F300E0 1F82259A
	v_mfma_f32_16x16x32_fp8_fp8 v[224:227], a[156:157], a[20:21], v[224:227]// 000000003D44: D3F300E0 1F82299C
	v_mfma_f32_16x16x32_fp8_fp8 v[224:227], a[158:159], a[22:23], v[224:227]// 000000003D4C: D3F300E0 1F822D9E
	v_mfma_f32_16x16x32_fp8_fp8 v[236:239], a[160:161], a[16:17], v[236:239]// 000000003D54: D3F300EC 1FB221A0
	s_add_u32 s60, 0x180, s80                                  // 000000003D5C: 803C50FF 00000180
	s_cmp_lt_u32 s60, s81                                      // 000000003D64: BF0A513C
	s_cselect_b32 s57, s57, 0                                  // 000000003D68: 85398039
	v_mfma_f32_16x16x32_fp8_fp8 v[236:239], a[162:163], a[18:19], v[236:239]// 000000003D6C: D3F300EC 1FB225A2
	s_add_u32 s60, 0x100, s80                                  // 000000003D74: 803C50FF 00000100
	s_cmp_lt_u32 s60, s81                                      // 000000003D7C: BF0A513C
	s_cselect_b32 s58, s58, 0                                  // 000000003D80: 853A803A
	v_mfma_f32_16x16x32_fp8_fp8 v[236:239], a[164:165], a[20:21], v[236:239]// 000000003D84: D3F300EC 1FB229A4
	s_add_u32 s60, 0x100, s80                                  // 000000003D8C: 803C50FF 00000100
	s_cmp_lt_u32 s60, s81                                      // 000000003D94: BF0A513C
	s_cselect_b32 s83, s83, 0                                  // 000000003D98: 85538053
	v_mfma_f32_16x16x32_fp8_fp8 v[236:239], a[166:167], a[22:23], v[236:239]// 000000003D9C: D3F300EC 1FB22DA6
	s_add_u32 s24, s58, s24                                    // 000000003DA4: 8018183A
	s_addc_u32 s25, 0, s25                                     // 000000003DA8: 82191980
	v_mfma_f32_16x16x32_fp8_fp8 v[248:251], a[168:169], a[16:17], v[248:251]// 000000003DAC: D3F300F8 1FE221A8
	s_add_u32 s20, s57, s20                                    // 000000003DB4: 80141439
	s_addc_u32 s21, 0, s21                                     // 000000003DB8: 82151580
	v_mfma_f32_16x16x32_fp8_fp8 v[248:251], a[170:171], a[18:19], v[248:251]// 000000003DBC: D3F300F8 1FE225AA
	s_add_u32 s84, s83, s84                                    // 000000003DC4: 80545453
	s_addc_u32 s85, 0, s85                                     // 000000003DC8: 82555580
	v_mfma_f32_16x16x32_fp8_fp8 v[248:251], a[172:173], a[20:21], v[248:251]// 000000003DCC: D3F300F8 1FE229AC
	v_mfma_f32_16x16x32_fp8_fp8 v[248:251], a[174:175], a[22:23], v[248:251]// 000000003DD4: D3F300F8 1FE22DAE
	s_addk_i32 s80, 0x80                                       // 000000003DDC: B7500080
	s_cmp_lt_i32 s80, s81                                      // 000000003DE0: BF045150
	s_cbranch_scc0 label_0EE2                                  // 000000003DE4: BF8409E8
	s_waitcnt vmcnt(22) lgkmcnt(0)                             // 000000003DE8: BF8C4076
	v_mfma_f32_16x16x32_fp8_fp8 v[60:63], a[176:177], a[24:25], v[60:63]// 000000003DEC: D3F3003C 1CF231B0
	v_mfma_f32_16x16x32_fp8_fp8 v[60:63], a[178:179], a[26:27], v[60:63]// 000000003DF4: D3F3003C 1CF235B2
	buffer_load_dwordx4 a[112:115], v49, s[24:27], 0 offen     // 000000003DFC: E05C1000 80867031
	v_mfma_f32_16x16x32_fp8_fp8 v[60:63], a[180:181], a[28:29], v[60:63]// 000000003E04: D3F3003C 1CF239B4
	v_mfma_f32_16x16x32_fp8_fp8 v[60:63], a[182:183], a[30:31], v[60:63]// 000000003E0C: D3F3003C 1CF23DB6
	v_mfma_f32_16x16x32_fp8_fp8 v[72:75], a[184:185], a[24:25], v[72:75]// 000000003E14: D3F30048 1D2231B8
	v_mfma_f32_16x16x32_fp8_fp8 v[72:75], a[186:187], a[26:27], v[72:75]// 000000003E1C: D3F30048 1D2235BA
	buffer_load_dwordx4 a[116:119], v49, s[24:27], 0 offen offset:1024// 000000003E24: E05C1400 80867431
	v_mfma_f32_16x16x32_fp8_fp8 v[72:75], a[188:189], a[28:29], v[72:75]// 000000003E2C: D3F30048 1D2239BC
	v_mfma_f32_16x16x32_fp8_fp8 v[72:75], a[190:191], a[30:31], v[72:75]// 000000003E34: D3F30048 1D223DBE
	v_mfma_f32_16x16x32_fp8_fp8 v[84:87], a[192:193], a[24:25], v[84:87]// 000000003E3C: D3F30054 1D5231C0
	v_mfma_f32_16x16x32_fp8_fp8 v[84:87], a[194:195], a[26:27], v[84:87]// 000000003E44: D3F30054 1D5235C2
	buffer_load_dwordx4 a[120:123], v50, s[24:27], 0 offen     // 000000003E4C: E05C1000 80867832
	v_mfma_f32_16x16x32_fp8_fp8 v[84:87], a[196:197], a[28:29], v[84:87]// 000000003E54: D3F30054 1D5239C4
	v_mfma_f32_16x16x32_fp8_fp8 v[84:87], a[198:199], a[30:31], v[84:87]// 000000003E5C: D3F30054 1D523DC6
	v_mfma_f32_16x16x32_fp8_fp8 v[96:99], a[200:201], a[24:25], v[96:99]// 000000003E64: D3F30060 1D8231C8
	v_mfma_f32_16x16x32_fp8_fp8 v[96:99], a[202:203], a[26:27], v[96:99]// 000000003E6C: D3F30060 1D8235CA
	buffer_load_dwordx4 a[124:127], v50, s[24:27], 0 offen offset:1024// 000000003E74: E05C1400 80867C32
	v_mfma_f32_16x16x32_fp8_fp8 v[96:99], a[204:205], a[28:29], v[96:99]// 000000003E7C: D3F30060 1D8239CC
	v_mfma_f32_16x16x32_fp8_fp8 v[96:99], a[206:207], a[30:31], v[96:99]// 000000003E84: D3F30060 1D823DCE
	v_mfma_f32_16x16x32_fp8_fp8 v[108:111], a[208:209], a[24:25], v[108:111]// 000000003E8C: D3F3006C 1DB231D0
	v_mfma_f32_16x16x32_fp8_fp8 v[108:111], a[210:211], a[26:27], v[108:111]// 000000003E94: D3F3006C 1DB235D2
	buffer_load_dwordx4 a[128:131], v51, s[24:27], 0 offen     // 000000003E9C: E05C1000 80868033
	v_mfma_f32_16x16x32_fp8_fp8 v[108:111], a[212:213], a[28:29], v[108:111]// 000000003EA4: D3F3006C 1DB239D4
	v_mfma_f32_16x16x32_fp8_fp8 v[108:111], a[214:215], a[30:31], v[108:111]// 000000003EAC: D3F3006C 1DB23DD6
	v_mfma_f32_16x16x32_fp8_fp8 v[120:123], a[216:217], a[24:25], v[120:123]// 000000003EB4: D3F30078 1DE231D8
	v_mfma_f32_16x16x32_fp8_fp8 v[120:123], a[218:219], a[26:27], v[120:123]// 000000003EBC: D3F30078 1DE235DA
	buffer_load_dwordx4 a[132:135], v51, s[24:27], 0 offen offset:1024// 000000003EC4: E05C1400 80868433
	v_mfma_f32_16x16x32_fp8_fp8 v[120:123], a[220:221], a[28:29], v[120:123]// 000000003ECC: D3F30078 1DE239DC
	v_mfma_f32_16x16x32_fp8_fp8 v[120:123], a[222:223], a[30:31], v[120:123]// 000000003ED4: D3F30078 1DE23DDE
	v_mfma_f32_16x16x32_fp8_fp8 v[132:135], a[224:225], a[24:25], v[132:135]// 000000003EDC: D3F30084 1E1231E0
	v_mfma_f32_16x16x32_fp8_fp8 v[132:135], a[226:227], a[26:27], v[132:135]// 000000003EE4: D3F30084 1E1235E2
	buffer_load_dwordx4 a[136:139], v52, s[24:27], 0 offen     // 000000003EEC: E05C1000 80868834
	v_mfma_f32_16x16x32_fp8_fp8 v[132:135], a[228:229], a[28:29], v[132:135]// 000000003EF4: D3F30084 1E1239E4
	v_mfma_f32_16x16x32_fp8_fp8 v[132:135], a[230:231], a[30:31], v[132:135]// 000000003EFC: D3F30084 1E123DE6
	v_mfma_f32_16x16x32_fp8_fp8 v[144:147], a[232:233], a[24:25], v[144:147]// 000000003F04: D3F30090 1E4231E8
	v_mfma_f32_16x16x32_fp8_fp8 v[144:147], a[234:235], a[26:27], v[144:147]// 000000003F0C: D3F30090 1E4235EA
	buffer_load_dwordx4 a[140:143], v52, s[24:27], 0 offen offset:1024// 000000003F14: E05C1400 80868C34
	v_mfma_f32_16x16x32_fp8_fp8 v[144:147], a[236:237], a[28:29], v[144:147]// 000000003F1C: D3F30090 1E4239EC
	v_mfma_f32_16x16x32_fp8_fp8 v[144:147], a[238:239], a[30:31], v[144:147]// 000000003F24: D3F30090 1E423DEE
	v_mfma_f32_16x16x32_fp8_fp8 v[64:67], a[176:177], a[32:33], v[64:67]// 000000003F2C: D3F30040 1D0241B0
	v_mfma_f32_16x16x32_fp8_fp8 v[64:67], a[178:179], a[34:35], v[64:67]// 000000003F34: D3F30040 1D0245B2
	buffer_load_dwordx4 a[144:147], v53, s[24:27], 0 offen     // 000000003F3C: E05C1000 80869035
	v_mfma_f32_16x16x32_fp8_fp8 v[64:67], a[180:181], a[36:37], v[64:67]// 000000003F44: D3F30040 1D0249B4
	v_mfma_f32_16x16x32_fp8_fp8 v[64:67], a[182:183], a[38:39], v[64:67]// 000000003F4C: D3F30040 1D024DB6
	v_mfma_f32_16x16x32_fp8_fp8 v[76:79], a[184:185], a[32:33], v[76:79]// 000000003F54: D3F3004C 1D3241B8
	v_mfma_f32_16x16x32_fp8_fp8 v[76:79], a[186:187], a[34:35], v[76:79]// 000000003F5C: D3F3004C 1D3245BA
	buffer_load_dwordx4 a[148:151], v53, s[24:27], 0 offen offset:1024// 000000003F64: E05C1400 80869435
	v_mfma_f32_16x16x32_fp8_fp8 v[76:79], a[188:189], a[36:37], v[76:79]// 000000003F6C: D3F3004C 1D3249BC
	v_mfma_f32_16x16x32_fp8_fp8 v[76:79], a[190:191], a[38:39], v[76:79]// 000000003F74: D3F3004C 1D324DBE
	v_mfma_f32_16x16x32_fp8_fp8 v[88:91], a[192:193], a[32:33], v[88:91]// 000000003F7C: D3F30058 1D6241C0
	v_mfma_f32_16x16x32_fp8_fp8 v[88:91], a[194:195], a[34:35], v[88:91]// 000000003F84: D3F30058 1D6245C2
	buffer_load_dwordx4 a[152:155], v54, s[24:27], 0 offen     // 000000003F8C: E05C1000 80869836
	v_mfma_f32_16x16x32_fp8_fp8 v[88:91], a[196:197], a[36:37], v[88:91]// 000000003F94: D3F30058 1D6249C4
	v_mfma_f32_16x16x32_fp8_fp8 v[88:91], a[198:199], a[38:39], v[88:91]// 000000003F9C: D3F30058 1D624DC6
	v_mfma_f32_16x16x32_fp8_fp8 v[100:103], a[200:201], a[32:33], v[100:103]// 000000003FA4: D3F30064 1D9241C8
	v_mfma_f32_16x16x32_fp8_fp8 v[100:103], a[202:203], a[34:35], v[100:103]// 000000003FAC: D3F30064 1D9245CA
	buffer_load_dwordx4 a[156:159], v54, s[24:27], 0 offen offset:1024// 000000003FB4: E05C1400 80869C36
	v_mfma_f32_16x16x32_fp8_fp8 v[100:103], a[204:205], a[36:37], v[100:103]// 000000003FBC: D3F30064 1D9249CC
	v_mfma_f32_16x16x32_fp8_fp8 v[100:103], a[206:207], a[38:39], v[100:103]// 000000003FC4: D3F30064 1D924DCE
	v_mfma_f32_16x16x32_fp8_fp8 v[112:115], a[208:209], a[32:33], v[112:115]// 000000003FCC: D3F30070 1DC241D0
	v_mfma_f32_16x16x32_fp8_fp8 v[112:115], a[210:211], a[34:35], v[112:115]// 000000003FD4: D3F30070 1DC245D2
	buffer_load_dwordx4 a[160:163], v55, s[24:27], 0 offen     // 000000003FDC: E05C1000 8086A037
	v_mfma_f32_16x16x32_fp8_fp8 v[112:115], a[212:213], a[36:37], v[112:115]// 000000003FE4: D3F30070 1DC249D4
	v_mfma_f32_16x16x32_fp8_fp8 v[112:115], a[214:215], a[38:39], v[112:115]// 000000003FEC: D3F30070 1DC24DD6
	v_mfma_f32_16x16x32_fp8_fp8 v[124:127], a[216:217], a[32:33], v[124:127]// 000000003FF4: D3F3007C 1DF241D8
	v_mfma_f32_16x16x32_fp8_fp8 v[124:127], a[218:219], a[34:35], v[124:127]// 000000003FFC: D3F3007C 1DF245DA
	buffer_load_dwordx4 a[164:167], v55, s[24:27], 0 offen offset:1024// 000000004004: E05C1400 8086A437
	v_mfma_f32_16x16x32_fp8_fp8 v[124:127], a[220:221], a[36:37], v[124:127]// 00000000400C: D3F3007C 1DF249DC
	v_mfma_f32_16x16x32_fp8_fp8 v[124:127], a[222:223], a[38:39], v[124:127]// 000000004014: D3F3007C 1DF24DDE
	v_mfma_f32_16x16x32_fp8_fp8 v[136:139], a[224:225], a[32:33], v[136:139]// 00000000401C: D3F30088 1E2241E0
	v_mfma_f32_16x16x32_fp8_fp8 v[136:139], a[226:227], a[34:35], v[136:139]// 000000004024: D3F30088 1E2245E2
	buffer_load_dwordx4 a[168:171], v56, s[24:27], 0 offen     // 00000000402C: E05C1000 8086A838
	v_mfma_f32_16x16x32_fp8_fp8 v[136:139], a[228:229], a[36:37], v[136:139]// 000000004034: D3F30088 1E2249E4
	v_mfma_f32_16x16x32_fp8_fp8 v[136:139], a[230:231], a[38:39], v[136:139]// 00000000403C: D3F30088 1E224DE6
	v_mfma_f32_16x16x32_fp8_fp8 v[148:151], a[232:233], a[32:33], v[148:151]// 000000004044: D3F30094 1E5241E8
	v_mfma_f32_16x16x32_fp8_fp8 v[148:151], a[234:235], a[34:35], v[148:151]// 00000000404C: D3F30094 1E5245EA
	buffer_load_dwordx4 a[172:175], v56, s[24:27], 0 offen offset:1024// 000000004054: E05C1400 8086AC38
	buffer_load_dword v43, s[20:23], 0 offen lds               // 00000000405C: E0511000 8005002B
	s_add_u32 m0, 0x100, s48                                   // 000000004064: 807C30FF 00000100
	v_mfma_f32_16x16x32_fp8_fp8 v[148:151], a[236:237], a[36:37], v[148:151]// 00000000406C: D3F30094 1E5249EC
	v_mfma_f32_16x16x32_fp8_fp8 v[148:151], a[238:239], a[38:39], v[148:151]// 000000004074: D3F30094 1E524DEE
	buffer_load_dword v44, s[20:23], 0 offen lds               // 00000000407C: E0511000 8005002C
	s_add_u32 m0, 0x200, s48                                   // 000000004084: 807C30FF 00000200
	v_mfma_f32_16x16x32_fp8_fp8 v[68:71], a[176:177], a[40:41], v[68:71]// 00000000408C: D3F30044 1D1251B0
	v_mfma_f32_16x16x32_fp8_fp8 v[68:71], a[178:179], a[42:43], v[68:71]// 000000004094: D3F30044 1D1255B2
	buffer_load_dword v45, s[20:23], 0 offen lds               // 00000000409C: E0511000 8005002D
	s_add_u32 m0, 0x300, s48                                   // 0000000040A4: 807C30FF 00000300
	v_mfma_f32_16x16x32_fp8_fp8 v[68:71], a[180:181], a[44:45], v[68:71]// 0000000040AC: D3F30044 1D1259B4
	v_mfma_f32_16x16x32_fp8_fp8 v[68:71], a[182:183], a[46:47], v[68:71]// 0000000040B4: D3F30044 1D125DB6
	buffer_load_dword v46, s[20:23], 0 offen lds               // 0000000040BC: E0511000 8005002E
	s_add_u32 m0, 0x400, s48                                   // 0000000040C4: 807C30FF 00000400
	v_mfma_f32_16x16x32_fp8_fp8 v[80:83], a[184:185], a[40:41], v[80:83]// 0000000040CC: D3F30050 1D4251B8
	v_mfma_f32_16x16x32_fp8_fp8 v[80:83], a[186:187], a[42:43], v[80:83]// 0000000040D4: D3F30050 1D4255BA
	buffer_load_dword v47, s[20:23], 0 offen lds               // 0000000040DC: E0511000 8005002F
	s_add_u32 m0, 0x500, s48                                   // 0000000040E4: 807C30FF 00000500
	v_mfma_f32_16x16x32_fp8_fp8 v[80:83], a[188:189], a[44:45], v[80:83]// 0000000040EC: D3F30050 1D4259BC
	v_mfma_f32_16x16x32_fp8_fp8 v[80:83], a[190:191], a[46:47], v[80:83]// 0000000040F4: D3F30050 1D425DBE
	buffer_load_dword v48, s[20:23], 0 offen lds               // 0000000040FC: E0511000 80050030
	s_add_u32 m0, 0, s49                                       // 000000004104: 807C3180
	v_mfma_f32_16x16x32_fp8_fp8 v[92:95], a[192:193], a[40:41], v[92:95]// 000000004108: D3F3005C 1D7251C0
	v_mfma_f32_16x16x32_fp8_fp8 v[92:95], a[194:195], a[42:43], v[92:95]// 000000004110: D3F3005C 1D7255C2
	v_mfma_f32_16x16x32_fp8_fp8 v[92:95], a[196:197], a[44:45], v[92:95]// 000000004118: D3F3005C 1D7259C4
	v_mfma_f32_16x16x32_fp8_fp8 v[92:95], a[198:199], a[46:47], v[92:95]// 000000004120: D3F3005C 1D725DC6
	v_mfma_f32_16x16x32_fp8_fp8 v[104:107], a[200:201], a[40:41], v[104:107]// 000000004128: D3F30068 1DA251C8
	v_mfma_f32_16x16x32_fp8_fp8 v[104:107], a[202:203], a[42:43], v[104:107]// 000000004130: D3F30068 1DA255CA
	v_mfma_f32_16x16x32_fp8_fp8 v[104:107], a[204:205], a[44:45], v[104:107]// 000000004138: D3F30068 1DA259CC
	v_mfma_f32_16x16x32_fp8_fp8 v[104:107], a[206:207], a[46:47], v[104:107]// 000000004140: D3F30068 1DA25DCE
	v_mfma_f32_16x16x32_fp8_fp8 v[116:119], a[208:209], a[40:41], v[116:119]// 000000004148: D3F30074 1DD251D0
	v_mfma_f32_16x16x32_fp8_fp8 v[116:119], a[210:211], a[42:43], v[116:119]// 000000004150: D3F30074 1DD255D2
	v_mfma_f32_16x16x32_fp8_fp8 v[116:119], a[212:213], a[44:45], v[116:119]// 000000004158: D3F30074 1DD259D4
	v_mfma_f32_16x16x32_fp8_fp8 v[116:119], a[214:215], a[46:47], v[116:119]// 000000004160: D3F30074 1DD25DD6
	v_mfma_f32_16x16x32_fp8_fp8 v[128:131], a[216:217], a[40:41], v[128:131]// 000000004168: D3F30080 1E0251D8
	v_mfma_f32_16x16x32_fp8_fp8 v[128:131], a[218:219], a[42:43], v[128:131]// 000000004170: D3F30080 1E0255DA
	v_mfma_f32_16x16x32_fp8_fp8 v[128:131], a[220:221], a[44:45], v[128:131]// 000000004178: D3F30080 1E0259DC
	v_mfma_f32_16x16x32_fp8_fp8 v[128:131], a[222:223], a[46:47], v[128:131]// 000000004180: D3F30080 1E025DDE
	v_mfma_f32_16x16x32_fp8_fp8 v[140:143], a[224:225], a[40:41], v[140:143]// 000000004188: D3F3008C 1E3251E0
	v_mfma_f32_16x16x32_fp8_fp8 v[140:143], a[226:227], a[42:43], v[140:143]// 000000004190: D3F3008C 1E3255E2
	v_mfma_f32_16x16x32_fp8_fp8 v[140:143], a[228:229], a[44:45], v[140:143]// 000000004198: D3F3008C 1E3259E4
	v_mfma_f32_16x16x32_fp8_fp8 v[140:143], a[230:231], a[46:47], v[140:143]// 0000000041A0: D3F3008C 1E325DE6
	v_mfma_f32_16x16x32_fp8_fp8 v[152:155], a[232:233], a[40:41], v[152:155]// 0000000041A8: D3F30098 1E6251E8
	v_mfma_f32_16x16x32_fp8_fp8 v[152:155], a[234:235], a[42:43], v[152:155]// 0000000041B0: D3F30098 1E6255EA
	v_mfma_f32_16x16x32_fp8_fp8 v[152:155], a[236:237], a[44:45], v[152:155]// 0000000041B8: D3F30098 1E6259EC
	v_mfma_f32_16x16x32_fp8_fp8 v[152:155], a[238:239], a[46:47], v[152:155]// 0000000041C0: D3F30098 1E625DEE
	s_waitcnt vmcnt(22)                                        // 0000000041C8: BF8C4F76
	s_barrier                                                  // 0000000041CC: BF8A0000
	v_mfma_f32_16x16x32_fp8_fp8 v[156:159], a[48:49], a[24:25], v[156:159]// 0000000041D0: D3F3009C 1E723130
	v_mfma_f32_16x16x32_fp8_fp8 v[156:159], a[50:51], a[26:27], v[156:159]// 0000000041D8: D3F3009C 1E723532
	buffer_load_dwordx4 a[176:179], v49, s[84:87], 0 offen     // 0000000041E0: E05C1000 8095B031
	v_mfma_f32_16x16x32_fp8_fp8 v[156:159], a[52:53], a[28:29], v[156:159]// 0000000041E8: D3F3009C 1E723934
	v_mfma_f32_16x16x32_fp8_fp8 v[156:159], a[54:55], a[30:31], v[156:159]// 0000000041F0: D3F3009C 1E723D36
	ds_read_b128 a[0:3], v2 offset:12544                       // 0000000041F8: DBFE3100 00000002
	ds_read_b128 a[4:7], v2 offset:12608                       // 000000004200: DBFE3140 04000002
	v_mfma_f32_16x16x32_fp8_fp8 v[168:171], a[56:57], a[24:25], v[168:171]// 000000004208: D3F300A8 1EA23138
	v_mfma_f32_16x16x32_fp8_fp8 v[168:171], a[58:59], a[26:27], v[168:171]// 000000004210: D3F300A8 1EA2353A
	buffer_load_dwordx4 a[180:183], v49, s[84:87], 0 offen offset:1024// 000000004218: E05C1400 8095B431
	v_mfma_f32_16x16x32_fp8_fp8 v[168:171], a[60:61], a[28:29], v[168:171]// 000000004220: D3F300A8 1EA2393C
	v_mfma_f32_16x16x32_fp8_fp8 v[168:171], a[62:63], a[30:31], v[168:171]// 000000004228: D3F300A8 1EA23D3E
	ds_read_b128 a[8:11], v2 offset:13056                      // 000000004230: DBFE3300 08000002
	ds_read_b128 a[12:15], v2 offset:13120                     // 000000004238: DBFE3340 0C000002
	v_mfma_f32_16x16x32_fp8_fp8 v[180:183], a[64:65], a[24:25], v[180:183]// 000000004240: D3F300B4 1ED23140
	v_mfma_f32_16x16x32_fp8_fp8 v[180:183], a[66:67], a[26:27], v[180:183]// 000000004248: D3F300B4 1ED23542
	buffer_load_dwordx4 a[184:187], v50, s[84:87], 0 offen     // 000000004250: E05C1000 8095B832
	v_mfma_f32_16x16x32_fp8_fp8 v[180:183], a[68:69], a[28:29], v[180:183]// 000000004258: D3F300B4 1ED23944
	v_mfma_f32_16x16x32_fp8_fp8 v[180:183], a[70:71], a[30:31], v[180:183]// 000000004260: D3F300B4 1ED23D46
	ds_read_b128 a[16:19], v2 offset:13568                     // 000000004268: DBFE3500 10000002
	ds_read_b128 a[20:23], v2 offset:13632                     // 000000004270: DBFE3540 14000002
	v_mfma_f32_16x16x32_fp8_fp8 v[192:195], a[72:73], a[24:25], v[192:195]// 000000004278: D3F300C0 1F023148
	v_mfma_f32_16x16x32_fp8_fp8 v[192:195], a[74:75], a[26:27], v[192:195]// 000000004280: D3F300C0 1F02354A
	buffer_load_dwordx4 a[188:191], v50, s[84:87], 0 offen offset:1024// 000000004288: E05C1400 8095BC32
	v_mfma_f32_16x16x32_fp8_fp8 v[192:195], a[76:77], a[28:29], v[192:195]// 000000004290: D3F300C0 1F02394C
	v_mfma_f32_16x16x32_fp8_fp8 v[192:195], a[78:79], a[30:31], v[192:195]// 000000004298: D3F300C0 1F023D4E
	v_mfma_f32_16x16x32_fp8_fp8 v[204:207], a[80:81], a[24:25], v[204:207]// 0000000042A0: D3F300CC 1F323150
	v_mfma_f32_16x16x32_fp8_fp8 v[204:207], a[82:83], a[26:27], v[204:207]// 0000000042A8: D3F300CC 1F323552
	buffer_load_dwordx4 a[192:195], v51, s[84:87], 0 offen     // 0000000042B0: E05C1000 8095C033
	v_mfma_f32_16x16x32_fp8_fp8 v[204:207], a[84:85], a[28:29], v[204:207]// 0000000042B8: D3F300CC 1F323954
	v_mfma_f32_16x16x32_fp8_fp8 v[204:207], a[86:87], a[30:31], v[204:207]// 0000000042C0: D3F300CC 1F323D56
	v_mfma_f32_16x16x32_fp8_fp8 v[216:219], a[88:89], a[24:25], v[216:219]// 0000000042C8: D3F300D8 1F623158
	v_mfma_f32_16x16x32_fp8_fp8 v[216:219], a[90:91], a[26:27], v[216:219]// 0000000042D0: D3F300D8 1F62355A
	buffer_load_dwordx4 a[196:199], v51, s[84:87], 0 offen offset:1024// 0000000042D8: E05C1400 8095C433
	v_mfma_f32_16x16x32_fp8_fp8 v[216:219], a[92:93], a[28:29], v[216:219]// 0000000042E0: D3F300D8 1F62395C
	v_mfma_f32_16x16x32_fp8_fp8 v[216:219], a[94:95], a[30:31], v[216:219]// 0000000042E8: D3F300D8 1F623D5E
	v_mfma_f32_16x16x32_fp8_fp8 v[228:231], a[96:97], a[24:25], v[228:231]// 0000000042F0: D3F300E4 1F923160
	v_mfma_f32_16x16x32_fp8_fp8 v[228:231], a[98:99], a[26:27], v[228:231]// 0000000042F8: D3F300E4 1F923562
	buffer_load_dwordx4 a[200:203], v52, s[84:87], 0 offen     // 000000004300: E05C1000 8095C834
	v_mfma_f32_16x16x32_fp8_fp8 v[228:231], a[100:101], a[28:29], v[228:231]// 000000004308: D3F300E4 1F923964
	v_mfma_f32_16x16x32_fp8_fp8 v[228:231], a[102:103], a[30:31], v[228:231]// 000000004310: D3F300E4 1F923D66
	v_mfma_f32_16x16x32_fp8_fp8 v[240:243], a[104:105], a[24:25], v[240:243]// 000000004318: D3F300F0 1FC23168
	v_mfma_f32_16x16x32_fp8_fp8 v[240:243], a[106:107], a[26:27], v[240:243]// 000000004320: D3F300F0 1FC2356A
	buffer_load_dwordx4 a[204:207], v52, s[84:87], 0 offen offset:1024// 000000004328: E05C1400 8095CC34
	v_mfma_f32_16x16x32_fp8_fp8 v[240:243], a[108:109], a[28:29], v[240:243]// 000000004330: D3F300F0 1FC2396C
	v_mfma_f32_16x16x32_fp8_fp8 v[240:243], a[110:111], a[30:31], v[240:243]// 000000004338: D3F300F0 1FC23D6E
	v_mfma_f32_16x16x32_fp8_fp8 v[160:163], a[48:49], a[32:33], v[160:163]// 000000004340: D3F300A0 1E824130
	v_mfma_f32_16x16x32_fp8_fp8 v[160:163], a[50:51], a[34:35], v[160:163]// 000000004348: D3F300A0 1E824532
	buffer_load_dwordx4 a[208:211], v53, s[84:87], 0 offen     // 000000004350: E05C1000 8095D035
	v_mfma_f32_16x16x32_fp8_fp8 v[160:163], a[52:53], a[36:37], v[160:163]// 000000004358: D3F300A0 1E824934
	v_mfma_f32_16x16x32_fp8_fp8 v[160:163], a[54:55], a[38:39], v[160:163]// 000000004360: D3F300A0 1E824D36
	v_mfma_f32_16x16x32_fp8_fp8 v[172:175], a[56:57], a[32:33], v[172:175]// 000000004368: D3F300AC 1EB24138
	v_mfma_f32_16x16x32_fp8_fp8 v[172:175], a[58:59], a[34:35], v[172:175]// 000000004370: D3F300AC 1EB2453A
	buffer_load_dwordx4 a[212:215], v53, s[84:87], 0 offen offset:1024// 000000004378: E05C1400 8095D435
	v_mfma_f32_16x16x32_fp8_fp8 v[172:175], a[60:61], a[36:37], v[172:175]// 000000004380: D3F300AC 1EB2493C
	v_mfma_f32_16x16x32_fp8_fp8 v[172:175], a[62:63], a[38:39], v[172:175]// 000000004388: D3F300AC 1EB24D3E
	v_mfma_f32_16x16x32_fp8_fp8 v[184:187], a[64:65], a[32:33], v[184:187]// 000000004390: D3F300B8 1EE24140
	v_mfma_f32_16x16x32_fp8_fp8 v[184:187], a[66:67], a[34:35], v[184:187]// 000000004398: D3F300B8 1EE24542
	buffer_load_dwordx4 a[216:219], v54, s[84:87], 0 offen     // 0000000043A0: E05C1000 8095D836
	v_mfma_f32_16x16x32_fp8_fp8 v[184:187], a[68:69], a[36:37], v[184:187]// 0000000043A8: D3F300B8 1EE24944
	v_mfma_f32_16x16x32_fp8_fp8 v[184:187], a[70:71], a[38:39], v[184:187]// 0000000043B0: D3F300B8 1EE24D46
	v_mfma_f32_16x16x32_fp8_fp8 v[196:199], a[72:73], a[32:33], v[196:199]// 0000000043B8: D3F300C4 1F124148
	v_mfma_f32_16x16x32_fp8_fp8 v[196:199], a[74:75], a[34:35], v[196:199]// 0000000043C0: D3F300C4 1F12454A
	buffer_load_dwordx4 a[220:223], v54, s[84:87], 0 offen offset:1024// 0000000043C8: E05C1400 8095DC36
	v_mfma_f32_16x16x32_fp8_fp8 v[196:199], a[76:77], a[36:37], v[196:199]// 0000000043D0: D3F300C4 1F12494C
	v_mfma_f32_16x16x32_fp8_fp8 v[196:199], a[78:79], a[38:39], v[196:199]// 0000000043D8: D3F300C4 1F124D4E
	v_mfma_f32_16x16x32_fp8_fp8 v[208:211], a[80:81], a[32:33], v[208:211]// 0000000043E0: D3F300D0 1F424150
	v_mfma_f32_16x16x32_fp8_fp8 v[208:211], a[82:83], a[34:35], v[208:211]// 0000000043E8: D3F300D0 1F424552
	buffer_load_dwordx4 a[224:227], v55, s[84:87], 0 offen     // 0000000043F0: E05C1000 8095E037
	v_mfma_f32_16x16x32_fp8_fp8 v[208:211], a[84:85], a[36:37], v[208:211]// 0000000043F8: D3F300D0 1F424954
	v_mfma_f32_16x16x32_fp8_fp8 v[208:211], a[86:87], a[38:39], v[208:211]// 000000004400: D3F300D0 1F424D56
	v_mfma_f32_16x16x32_fp8_fp8 v[220:223], a[88:89], a[32:33], v[220:223]// 000000004408: D3F300DC 1F724158
	v_mfma_f32_16x16x32_fp8_fp8 v[220:223], a[90:91], a[34:35], v[220:223]// 000000004410: D3F300DC 1F72455A
	buffer_load_dwordx4 a[228:231], v55, s[84:87], 0 offen offset:1024// 000000004418: E05C1400 8095E437
	v_mfma_f32_16x16x32_fp8_fp8 v[220:223], a[92:93], a[36:37], v[220:223]// 000000004420: D3F300DC 1F72495C
	v_mfma_f32_16x16x32_fp8_fp8 v[220:223], a[94:95], a[38:39], v[220:223]// 000000004428: D3F300DC 1F724D5E
	v_mfma_f32_16x16x32_fp8_fp8 v[232:235], a[96:97], a[32:33], v[232:235]// 000000004430: D3F300E8 1FA24160
	v_mfma_f32_16x16x32_fp8_fp8 v[232:235], a[98:99], a[34:35], v[232:235]// 000000004438: D3F300E8 1FA24562
	buffer_load_dwordx4 a[232:235], v56, s[84:87], 0 offen     // 000000004440: E05C1000 8095E838
	v_mfma_f32_16x16x32_fp8_fp8 v[232:235], a[100:101], a[36:37], v[232:235]// 000000004448: D3F300E8 1FA24964
	v_mfma_f32_16x16x32_fp8_fp8 v[232:235], a[102:103], a[38:39], v[232:235]// 000000004450: D3F300E8 1FA24D66
	v_mfma_f32_16x16x32_fp8_fp8 v[244:247], a[104:105], a[32:33], v[244:247]// 000000004458: D3F300F4 1FD24168
	v_mfma_f32_16x16x32_fp8_fp8 v[244:247], a[106:107], a[34:35], v[244:247]// 000000004460: D3F300F4 1FD2456A
	buffer_load_dwordx4 a[236:239], v56, s[84:87], 0 offen offset:1024// 000000004468: E05C1400 8095EC38
	v_mfma_f32_16x16x32_fp8_fp8 v[244:247], a[108:109], a[36:37], v[244:247]// 000000004470: D3F300F4 1FD2496C
	v_mfma_f32_16x16x32_fp8_fp8 v[244:247], a[110:111], a[38:39], v[244:247]// 000000004478: D3F300F4 1FD24D6E
	v_mfma_f32_16x16x32_fp8_fp8 v[164:167], a[48:49], a[40:41], v[164:167]// 000000004480: D3F300A4 1E925130
	v_mfma_f32_16x16x32_fp8_fp8 v[164:167], a[50:51], a[42:43], v[164:167]// 000000004488: D3F300A4 1E925532
	v_mfma_f32_16x16x32_fp8_fp8 v[164:167], a[52:53], a[44:45], v[164:167]// 000000004490: D3F300A4 1E925934
	v_mfma_f32_16x16x32_fp8_fp8 v[164:167], a[54:55], a[46:47], v[164:167]// 000000004498: D3F300A4 1E925D36
	v_mfma_f32_16x16x32_fp8_fp8 v[176:179], a[56:57], a[40:41], v[176:179]// 0000000044A0: D3F300B0 1EC25138
	v_mfma_f32_16x16x32_fp8_fp8 v[176:179], a[58:59], a[42:43], v[176:179]// 0000000044A8: D3F300B0 1EC2553A
	v_mfma_f32_16x16x32_fp8_fp8 v[176:179], a[60:61], a[44:45], v[176:179]// 0000000044B0: D3F300B0 1EC2593C
	v_mfma_f32_16x16x32_fp8_fp8 v[176:179], a[62:63], a[46:47], v[176:179]// 0000000044B8: D3F300B0 1EC25D3E
	v_mfma_f32_16x16x32_fp8_fp8 v[188:191], a[64:65], a[40:41], v[188:191]// 0000000044C0: D3F300BC 1EF25140
	v_mfma_f32_16x16x32_fp8_fp8 v[188:191], a[66:67], a[42:43], v[188:191]// 0000000044C8: D3F300BC 1EF25542
	v_mfma_f32_16x16x32_fp8_fp8 v[188:191], a[68:69], a[44:45], v[188:191]// 0000000044D0: D3F300BC 1EF25944
	v_mfma_f32_16x16x32_fp8_fp8 v[188:191], a[70:71], a[46:47], v[188:191]// 0000000044D8: D3F300BC 1EF25D46
	v_mfma_f32_16x16x32_fp8_fp8 v[200:203], a[72:73], a[40:41], v[200:203]// 0000000044E0: D3F300C8 1F225148
	v_mfma_f32_16x16x32_fp8_fp8 v[200:203], a[74:75], a[42:43], v[200:203]// 0000000044E8: D3F300C8 1F22554A
	v_mfma_f32_16x16x32_fp8_fp8 v[200:203], a[76:77], a[44:45], v[200:203]// 0000000044F0: D3F300C8 1F22594C
	v_mfma_f32_16x16x32_fp8_fp8 v[200:203], a[78:79], a[46:47], v[200:203]// 0000000044F8: D3F300C8 1F225D4E
	v_mfma_f32_16x16x32_fp8_fp8 v[212:215], a[80:81], a[40:41], v[212:215]// 000000004500: D3F300D4 1F525150
	v_mfma_f32_16x16x32_fp8_fp8 v[212:215], a[82:83], a[42:43], v[212:215]// 000000004508: D3F300D4 1F525552
	v_mfma_f32_16x16x32_fp8_fp8 v[212:215], a[84:85], a[44:45], v[212:215]// 000000004510: D3F300D4 1F525954
	v_mfma_f32_16x16x32_fp8_fp8 v[212:215], a[86:87], a[46:47], v[212:215]// 000000004518: D3F300D4 1F525D56
	v_mfma_f32_16x16x32_fp8_fp8 v[224:227], a[88:89], a[40:41], v[224:227]// 000000004520: D3F300E0 1F825158
	v_mfma_f32_16x16x32_fp8_fp8 v[224:227], a[90:91], a[42:43], v[224:227]// 000000004528: D3F300E0 1F82555A
	v_mfma_f32_16x16x32_fp8_fp8 v[224:227], a[92:93], a[44:45], v[224:227]// 000000004530: D3F300E0 1F82595C
	v_mfma_f32_16x16x32_fp8_fp8 v[224:227], a[94:95], a[46:47], v[224:227]// 000000004538: D3F300E0 1F825D5E
	v_mfma_f32_16x16x32_fp8_fp8 v[236:239], a[96:97], a[40:41], v[236:239]// 000000004540: D3F300EC 1FB25160
	s_add_u32 s60, 0x180, s80                                  // 000000004548: 803C50FF 00000180
	s_cmp_lt_u32 s60, s81                                      // 000000004550: BF0A513C
	s_cselect_b32 s57, s57, 0                                  // 000000004554: 85398039
	v_mfma_f32_16x16x32_fp8_fp8 v[236:239], a[98:99], a[42:43], v[236:239]// 000000004558: D3F300EC 1FB25562
	s_add_u32 s60, 0x100, s80                                  // 000000004560: 803C50FF 00000100
	s_cmp_lt_u32 s60, s81                                      // 000000004568: BF0A513C
	s_cselect_b32 s58, s58, 0                                  // 00000000456C: 853A803A
	v_mfma_f32_16x16x32_fp8_fp8 v[236:239], a[100:101], a[44:45], v[236:239]// 000000004570: D3F300EC 1FB25964
	s_add_u32 s60, 0x100, s80                                  // 000000004578: 803C50FF 00000100
	s_cmp_lt_u32 s60, s81                                      // 000000004580: BF0A513C
	s_cselect_b32 s83, s83, 0                                  // 000000004584: 85538053
	v_mfma_f32_16x16x32_fp8_fp8 v[236:239], a[102:103], a[46:47], v[236:239]// 000000004588: D3F300EC 1FB25D66
	s_add_u32 s24, s58, s24                                    // 000000004590: 8018183A
	s_addc_u32 s25, 0, s25                                     // 000000004594: 82191980
	v_mfma_f32_16x16x32_fp8_fp8 v[248:251], a[104:105], a[40:41], v[248:251]// 000000004598: D3F300F8 1FE25168
	s_add_u32 s20, s57, s20                                    // 0000000045A0: 80141439
	s_addc_u32 s21, 0, s21                                     // 0000000045A4: 82151580
	v_mfma_f32_16x16x32_fp8_fp8 v[248:251], a[106:107], a[42:43], v[248:251]// 0000000045A8: D3F300F8 1FE2556A
	s_add_u32 s84, s83, s84                                    // 0000000045B0: 80545453
	s_addc_u32 s85, 0, s85                                     // 0000000045B4: 82555580
	v_mfma_f32_16x16x32_fp8_fp8 v[248:251], a[108:109], a[44:45], v[248:251]// 0000000045B8: D3F300F8 1FE2596C
	v_mfma_f32_16x16x32_fp8_fp8 v[248:251], a[110:111], a[46:47], v[248:251]// 0000000045C0: D3F300F8 1FE25D6E
	s_addk_i32 s80, 0x80                                       // 0000000045C8: B7500080
	s_cmp_lt_i32 s80, s81                                      // 0000000045CC: BF045150
	s_cbranch_scc0 label_0EE2                                  // 0000000045D0: BF8407ED
	s_waitcnt vmcnt(22) lgkmcnt(0)                             // 0000000045D4: BF8C4076
	v_mfma_f32_16x16x32_fp8_fp8 v[60:63], a[112:113], a[0:1], v[60:63]// 0000000045D8: D3F3003C 1CF20170
	v_mfma_f32_16x16x32_fp8_fp8 v[60:63], a[114:115], a[2:3], v[60:63]// 0000000045E0: D3F3003C 1CF20572
	buffer_load_dwordx4 a[48:51], v49, s[24:27], 0 offen       // 0000000045E8: E05C1000 80863031
	v_mfma_f32_16x16x32_fp8_fp8 v[60:63], a[116:117], a[4:5], v[60:63]// 0000000045F0: D3F3003C 1CF20974
	v_mfma_f32_16x16x32_fp8_fp8 v[60:63], a[118:119], a[6:7], v[60:63]// 0000000045F8: D3F3003C 1CF20D76
	v_mfma_f32_16x16x32_fp8_fp8 v[72:75], a[120:121], a[0:1], v[72:75]// 000000004600: D3F30048 1D220178
	v_mfma_f32_16x16x32_fp8_fp8 v[72:75], a[122:123], a[2:3], v[72:75]// 000000004608: D3F30048 1D22057A
	buffer_load_dwordx4 a[52:55], v49, s[24:27], 0 offen offset:1024// 000000004610: E05C1400 80863431
	v_mfma_f32_16x16x32_fp8_fp8 v[72:75], a[124:125], a[4:5], v[72:75]// 000000004618: D3F30048 1D22097C
	v_mfma_f32_16x16x32_fp8_fp8 v[72:75], a[126:127], a[6:7], v[72:75]// 000000004620: D3F30048 1D220D7E
	v_mfma_f32_16x16x32_fp8_fp8 v[84:87], a[128:129], a[0:1], v[84:87]// 000000004628: D3F30054 1D520180
	v_mfma_f32_16x16x32_fp8_fp8 v[84:87], a[130:131], a[2:3], v[84:87]// 000000004630: D3F30054 1D520582
	buffer_load_dwordx4 a[56:59], v50, s[24:27], 0 offen       // 000000004638: E05C1000 80863832
	v_mfma_f32_16x16x32_fp8_fp8 v[84:87], a[132:133], a[4:5], v[84:87]// 000000004640: D3F30054 1D520984
	v_mfma_f32_16x16x32_fp8_fp8 v[84:87], a[134:135], a[6:7], v[84:87]// 000000004648: D3F30054 1D520D86
	v_mfma_f32_16x16x32_fp8_fp8 v[96:99], a[136:137], a[0:1], v[96:99]// 000000004650: D3F30060 1D820188
	v_mfma_f32_16x16x32_fp8_fp8 v[96:99], a[138:139], a[2:3], v[96:99]// 000000004658: D3F30060 1D82058A
	buffer_load_dwordx4 a[60:63], v50, s[24:27], 0 offen offset:1024// 000000004660: E05C1400 80863C32
	v_mfma_f32_16x16x32_fp8_fp8 v[96:99], a[140:141], a[4:5], v[96:99]// 000000004668: D3F30060 1D82098C
	v_mfma_f32_16x16x32_fp8_fp8 v[96:99], a[142:143], a[6:7], v[96:99]// 000000004670: D3F30060 1D820D8E
	v_mfma_f32_16x16x32_fp8_fp8 v[108:111], a[144:145], a[0:1], v[108:111]// 000000004678: D3F3006C 1DB20190
	v_mfma_f32_16x16x32_fp8_fp8 v[108:111], a[146:147], a[2:3], v[108:111]// 000000004680: D3F3006C 1DB20592
	buffer_load_dwordx4 a[64:67], v51, s[24:27], 0 offen       // 000000004688: E05C1000 80864033
	v_mfma_f32_16x16x32_fp8_fp8 v[108:111], a[148:149], a[4:5], v[108:111]// 000000004690: D3F3006C 1DB20994
	v_mfma_f32_16x16x32_fp8_fp8 v[108:111], a[150:151], a[6:7], v[108:111]// 000000004698: D3F3006C 1DB20D96
	v_mfma_f32_16x16x32_fp8_fp8 v[120:123], a[152:153], a[0:1], v[120:123]// 0000000046A0: D3F30078 1DE20198
	v_mfma_f32_16x16x32_fp8_fp8 v[120:123], a[154:155], a[2:3], v[120:123]// 0000000046A8: D3F30078 1DE2059A
	buffer_load_dwordx4 a[68:71], v51, s[24:27], 0 offen offset:1024// 0000000046B0: E05C1400 80864433
	v_mfma_f32_16x16x32_fp8_fp8 v[120:123], a[156:157], a[4:5], v[120:123]// 0000000046B8: D3F30078 1DE2099C
	v_mfma_f32_16x16x32_fp8_fp8 v[120:123], a[158:159], a[6:7], v[120:123]// 0000000046C0: D3F30078 1DE20D9E
	v_mfma_f32_16x16x32_fp8_fp8 v[132:135], a[160:161], a[0:1], v[132:135]// 0000000046C8: D3F30084 1E1201A0
	v_mfma_f32_16x16x32_fp8_fp8 v[132:135], a[162:163], a[2:3], v[132:135]// 0000000046D0: D3F30084 1E1205A2
	buffer_load_dwordx4 a[72:75], v52, s[24:27], 0 offen       // 0000000046D8: E05C1000 80864834
	v_mfma_f32_16x16x32_fp8_fp8 v[132:135], a[164:165], a[4:5], v[132:135]// 0000000046E0: D3F30084 1E1209A4
	v_mfma_f32_16x16x32_fp8_fp8 v[132:135], a[166:167], a[6:7], v[132:135]// 0000000046E8: D3F30084 1E120DA6
	v_mfma_f32_16x16x32_fp8_fp8 v[144:147], a[168:169], a[0:1], v[144:147]// 0000000046F0: D3F30090 1E4201A8
	v_mfma_f32_16x16x32_fp8_fp8 v[144:147], a[170:171], a[2:3], v[144:147]// 0000000046F8: D3F30090 1E4205AA
	buffer_load_dwordx4 a[76:79], v52, s[24:27], 0 offen offset:1024// 000000004700: E05C1400 80864C34
	v_mfma_f32_16x16x32_fp8_fp8 v[144:147], a[172:173], a[4:5], v[144:147]// 000000004708: D3F30090 1E4209AC
	v_mfma_f32_16x16x32_fp8_fp8 v[144:147], a[174:175], a[6:7], v[144:147]// 000000004710: D3F30090 1E420DAE
	v_mfma_f32_16x16x32_fp8_fp8 v[64:67], a[112:113], a[8:9], v[64:67]// 000000004718: D3F30040 1D021170
	v_mfma_f32_16x16x32_fp8_fp8 v[64:67], a[114:115], a[10:11], v[64:67]// 000000004720: D3F30040 1D021572
	buffer_load_dwordx4 a[80:83], v53, s[24:27], 0 offen       // 000000004728: E05C1000 80865035
	v_mfma_f32_16x16x32_fp8_fp8 v[64:67], a[116:117], a[12:13], v[64:67]// 000000004730: D3F30040 1D021974
	v_mfma_f32_16x16x32_fp8_fp8 v[64:67], a[118:119], a[14:15], v[64:67]// 000000004738: D3F30040 1D021D76
	v_mfma_f32_16x16x32_fp8_fp8 v[76:79], a[120:121], a[8:9], v[76:79]// 000000004740: D3F3004C 1D321178
	v_mfma_f32_16x16x32_fp8_fp8 v[76:79], a[122:123], a[10:11], v[76:79]// 000000004748: D3F3004C 1D32157A
	buffer_load_dwordx4 a[84:87], v53, s[24:27], 0 offen offset:1024// 000000004750: E05C1400 80865435
	v_mfma_f32_16x16x32_fp8_fp8 v[76:79], a[124:125], a[12:13], v[76:79]// 000000004758: D3F3004C 1D32197C
	v_mfma_f32_16x16x32_fp8_fp8 v[76:79], a[126:127], a[14:15], v[76:79]// 000000004760: D3F3004C 1D321D7E
	v_mfma_f32_16x16x32_fp8_fp8 v[88:91], a[128:129], a[8:9], v[88:91]// 000000004768: D3F30058 1D621180
	v_mfma_f32_16x16x32_fp8_fp8 v[88:91], a[130:131], a[10:11], v[88:91]// 000000004770: D3F30058 1D621582
	buffer_load_dwordx4 a[88:91], v54, s[24:27], 0 offen       // 000000004778: E05C1000 80865836
	v_mfma_f32_16x16x32_fp8_fp8 v[88:91], a[132:133], a[12:13], v[88:91]// 000000004780: D3F30058 1D621984
	v_mfma_f32_16x16x32_fp8_fp8 v[88:91], a[134:135], a[14:15], v[88:91]// 000000004788: D3F30058 1D621D86
	v_mfma_f32_16x16x32_fp8_fp8 v[100:103], a[136:137], a[8:9], v[100:103]// 000000004790: D3F30064 1D921188
	v_mfma_f32_16x16x32_fp8_fp8 v[100:103], a[138:139], a[10:11], v[100:103]// 000000004798: D3F30064 1D92158A
	buffer_load_dwordx4 a[92:95], v54, s[24:27], 0 offen offset:1024// 0000000047A0: E05C1400 80865C36
	v_mfma_f32_16x16x32_fp8_fp8 v[100:103], a[140:141], a[12:13], v[100:103]// 0000000047A8: D3F30064 1D92198C
	v_mfma_f32_16x16x32_fp8_fp8 v[100:103], a[142:143], a[14:15], v[100:103]// 0000000047B0: D3F30064 1D921D8E
	v_mfma_f32_16x16x32_fp8_fp8 v[112:115], a[144:145], a[8:9], v[112:115]// 0000000047B8: D3F30070 1DC21190
	v_mfma_f32_16x16x32_fp8_fp8 v[112:115], a[146:147], a[10:11], v[112:115]// 0000000047C0: D3F30070 1DC21592
	buffer_load_dwordx4 a[96:99], v55, s[24:27], 0 offen       // 0000000047C8: E05C1000 80866037
	v_mfma_f32_16x16x32_fp8_fp8 v[112:115], a[148:149], a[12:13], v[112:115]// 0000000047D0: D3F30070 1DC21994
	v_mfma_f32_16x16x32_fp8_fp8 v[112:115], a[150:151], a[14:15], v[112:115]// 0000000047D8: D3F30070 1DC21D96
	v_mfma_f32_16x16x32_fp8_fp8 v[124:127], a[152:153], a[8:9], v[124:127]// 0000000047E0: D3F3007C 1DF21198
	v_mfma_f32_16x16x32_fp8_fp8 v[124:127], a[154:155], a[10:11], v[124:127]// 0000000047E8: D3F3007C 1DF2159A
	buffer_load_dwordx4 a[100:103], v55, s[24:27], 0 offen offset:1024// 0000000047F0: E05C1400 80866437
	v_mfma_f32_16x16x32_fp8_fp8 v[124:127], a[156:157], a[12:13], v[124:127]// 0000000047F8: D3F3007C 1DF2199C
	v_mfma_f32_16x16x32_fp8_fp8 v[124:127], a[158:159], a[14:15], v[124:127]// 000000004800: D3F3007C 1DF21D9E
	v_mfma_f32_16x16x32_fp8_fp8 v[136:139], a[160:161], a[8:9], v[136:139]// 000000004808: D3F30088 1E2211A0
	v_mfma_f32_16x16x32_fp8_fp8 v[136:139], a[162:163], a[10:11], v[136:139]// 000000004810: D3F30088 1E2215A2
	buffer_load_dwordx4 a[104:107], v56, s[24:27], 0 offen     // 000000004818: E05C1000 80866838
	v_mfma_f32_16x16x32_fp8_fp8 v[136:139], a[164:165], a[12:13], v[136:139]// 000000004820: D3F30088 1E2219A4
	v_mfma_f32_16x16x32_fp8_fp8 v[136:139], a[166:167], a[14:15], v[136:139]// 000000004828: D3F30088 1E221DA6
	v_mfma_f32_16x16x32_fp8_fp8 v[148:151], a[168:169], a[8:9], v[148:151]// 000000004830: D3F30094 1E5211A8
	v_mfma_f32_16x16x32_fp8_fp8 v[148:151], a[170:171], a[10:11], v[148:151]// 000000004838: D3F30094 1E5215AA
	buffer_load_dwordx4 a[108:111], v56, s[24:27], 0 offen offset:1024// 000000004840: E05C1400 80866C38
	buffer_load_dword v43, s[20:23], 0 offen lds               // 000000004848: E0511000 8005002B
	s_add_u32 m0, 0x100, s49                                   // 000000004850: 807C31FF 00000100
	v_mfma_f32_16x16x32_fp8_fp8 v[148:151], a[172:173], a[12:13], v[148:151]// 000000004858: D3F30094 1E5219AC
	v_mfma_f32_16x16x32_fp8_fp8 v[148:151], a[174:175], a[14:15], v[148:151]// 000000004860: D3F30094 1E521DAE
	buffer_load_dword v44, s[20:23], 0 offen lds               // 000000004868: E0511000 8005002C
	s_add_u32 m0, 0x200, s49                                   // 000000004870: 807C31FF 00000200
	v_mfma_f32_16x16x32_fp8_fp8 v[68:71], a[112:113], a[16:17], v[68:71]// 000000004878: D3F30044 1D122170
	v_mfma_f32_16x16x32_fp8_fp8 v[68:71], a[114:115], a[18:19], v[68:71]// 000000004880: D3F30044 1D122572
	buffer_load_dword v45, s[20:23], 0 offen lds               // 000000004888: E0511000 8005002D
	s_add_u32 m0, 0x300, s49                                   // 000000004890: 807C31FF 00000300
	v_mfma_f32_16x16x32_fp8_fp8 v[68:71], a[116:117], a[20:21], v[68:71]// 000000004898: D3F30044 1D122974
	v_mfma_f32_16x16x32_fp8_fp8 v[68:71], a[118:119], a[22:23], v[68:71]// 0000000048A0: D3F30044 1D122D76
	buffer_load_dword v46, s[20:23], 0 offen lds               // 0000000048A8: E0511000 8005002E
	s_add_u32 m0, 0x400, s49                                   // 0000000048B0: 807C31FF 00000400
	v_mfma_f32_16x16x32_fp8_fp8 v[80:83], a[120:121], a[16:17], v[80:83]// 0000000048B8: D3F30050 1D422178
	v_mfma_f32_16x16x32_fp8_fp8 v[80:83], a[122:123], a[18:19], v[80:83]// 0000000048C0: D3F30050 1D42257A
	buffer_load_dword v47, s[20:23], 0 offen lds               // 0000000048C8: E0511000 8005002F
	s_add_u32 m0, 0x500, s49                                   // 0000000048D0: 807C31FF 00000500
	v_mfma_f32_16x16x32_fp8_fp8 v[80:83], a[124:125], a[20:21], v[80:83]// 0000000048D8: D3F30050 1D42297C
	v_mfma_f32_16x16x32_fp8_fp8 v[80:83], a[126:127], a[22:23], v[80:83]// 0000000048E0: D3F30050 1D422D7E
	buffer_load_dword v48, s[20:23], 0 offen lds               // 0000000048E8: E0511000 80050030
	s_add_u32 m0, 0, s50                                       // 0000000048F0: 807C3280
	v_mfma_f32_16x16x32_fp8_fp8 v[92:95], a[128:129], a[16:17], v[92:95]// 0000000048F4: D3F3005C 1D722180
	v_mfma_f32_16x16x32_fp8_fp8 v[92:95], a[130:131], a[18:19], v[92:95]// 0000000048FC: D3F3005C 1D722582
	v_mfma_f32_16x16x32_fp8_fp8 v[92:95], a[132:133], a[20:21], v[92:95]// 000000004904: D3F3005C 1D722984
	v_mfma_f32_16x16x32_fp8_fp8 v[92:95], a[134:135], a[22:23], v[92:95]// 00000000490C: D3F3005C 1D722D86
	v_mfma_f32_16x16x32_fp8_fp8 v[104:107], a[136:137], a[16:17], v[104:107]// 000000004914: D3F30068 1DA22188
	v_mfma_f32_16x16x32_fp8_fp8 v[104:107], a[138:139], a[18:19], v[104:107]// 00000000491C: D3F30068 1DA2258A
	v_mfma_f32_16x16x32_fp8_fp8 v[104:107], a[140:141], a[20:21], v[104:107]// 000000004924: D3F30068 1DA2298C
	v_mfma_f32_16x16x32_fp8_fp8 v[104:107], a[142:143], a[22:23], v[104:107]// 00000000492C: D3F30068 1DA22D8E
	v_mfma_f32_16x16x32_fp8_fp8 v[116:119], a[144:145], a[16:17], v[116:119]// 000000004934: D3F30074 1DD22190
	v_mfma_f32_16x16x32_fp8_fp8 v[116:119], a[146:147], a[18:19], v[116:119]// 00000000493C: D3F30074 1DD22592
	v_mfma_f32_16x16x32_fp8_fp8 v[116:119], a[148:149], a[20:21], v[116:119]// 000000004944: D3F30074 1DD22994
	v_mfma_f32_16x16x32_fp8_fp8 v[116:119], a[150:151], a[22:23], v[116:119]// 00000000494C: D3F30074 1DD22D96
	v_mfma_f32_16x16x32_fp8_fp8 v[128:131], a[152:153], a[16:17], v[128:131]// 000000004954: D3F30080 1E022198
	v_mfma_f32_16x16x32_fp8_fp8 v[128:131], a[154:155], a[18:19], v[128:131]// 00000000495C: D3F30080 1E02259A
	v_mfma_f32_16x16x32_fp8_fp8 v[128:131], a[156:157], a[20:21], v[128:131]// 000000004964: D3F30080 1E02299C
	v_mfma_f32_16x16x32_fp8_fp8 v[128:131], a[158:159], a[22:23], v[128:131]// 00000000496C: D3F30080 1E022D9E
	v_mfma_f32_16x16x32_fp8_fp8 v[140:143], a[160:161], a[16:17], v[140:143]// 000000004974: D3F3008C 1E3221A0
	v_mfma_f32_16x16x32_fp8_fp8 v[140:143], a[162:163], a[18:19], v[140:143]// 00000000497C: D3F3008C 1E3225A2
	v_mfma_f32_16x16x32_fp8_fp8 v[140:143], a[164:165], a[20:21], v[140:143]// 000000004984: D3F3008C 1E3229A4
	v_mfma_f32_16x16x32_fp8_fp8 v[140:143], a[166:167], a[22:23], v[140:143]// 00000000498C: D3F3008C 1E322DA6
	v_mfma_f32_16x16x32_fp8_fp8 v[152:155], a[168:169], a[16:17], v[152:155]// 000000004994: D3F30098 1E6221A8
	v_mfma_f32_16x16x32_fp8_fp8 v[152:155], a[170:171], a[18:19], v[152:155]// 00000000499C: D3F30098 1E6225AA
	v_mfma_f32_16x16x32_fp8_fp8 v[152:155], a[172:173], a[20:21], v[152:155]// 0000000049A4: D3F30098 1E6229AC
	v_mfma_f32_16x16x32_fp8_fp8 v[152:155], a[174:175], a[22:23], v[152:155]// 0000000049AC: D3F30098 1E622DAE
	s_waitcnt vmcnt(22)                                        // 0000000049B4: BF8C4F76
	s_barrier                                                  // 0000000049B8: BF8A0000
	v_mfma_f32_16x16x32_fp8_fp8 v[156:159], a[176:177], a[0:1], v[156:159]// 0000000049BC: D3F3009C 1E7201B0
	v_mfma_f32_16x16x32_fp8_fp8 v[156:159], a[178:179], a[2:3], v[156:159]// 0000000049C4: D3F3009C 1E7205B2
	buffer_load_dwordx4 a[112:115], v49, s[84:87], 0 offen     // 0000000049CC: E05C1000 80957031
	v_mfma_f32_16x16x32_fp8_fp8 v[156:159], a[180:181], a[4:5], v[156:159]// 0000000049D4: D3F3009C 1E7209B4
	v_mfma_f32_16x16x32_fp8_fp8 v[156:159], a[182:183], a[6:7], v[156:159]// 0000000049DC: D3F3009C 1E720DB6
	ds_read_b128 a[24:27], v2                                  // 0000000049E4: DBFE0000 18000002
	ds_read_b128 a[28:31], v2 offset:64                        // 0000000049EC: DBFE0040 1C000002
	v_mfma_f32_16x16x32_fp8_fp8 v[168:171], a[184:185], a[0:1], v[168:171]// 0000000049F4: D3F300A8 1EA201B8
	v_mfma_f32_16x16x32_fp8_fp8 v[168:171], a[186:187], a[2:3], v[168:171]// 0000000049FC: D3F300A8 1EA205BA
	buffer_load_dwordx4 a[116:119], v49, s[84:87], 0 offen offset:1024// 000000004A04: E05C1400 80957431
	v_mfma_f32_16x16x32_fp8_fp8 v[168:171], a[188:189], a[4:5], v[168:171]// 000000004A0C: D3F300A8 1EA209BC
	v_mfma_f32_16x16x32_fp8_fp8 v[168:171], a[190:191], a[6:7], v[168:171]// 000000004A14: D3F300A8 1EA20DBE
	ds_read_b128 a[32:35], v2 offset:512                       // 000000004A1C: DBFE0200 20000002
	ds_read_b128 a[36:39], v2 offset:576                       // 000000004A24: DBFE0240 24000002
	v_mfma_f32_16x16x32_fp8_fp8 v[180:183], a[192:193], a[0:1], v[180:183]// 000000004A2C: D3F300B4 1ED201C0
	v_mfma_f32_16x16x32_fp8_fp8 v[180:183], a[194:195], a[2:3], v[180:183]// 000000004A34: D3F300B4 1ED205C2
	buffer_load_dwordx4 a[120:123], v50, s[84:87], 0 offen     // 000000004A3C: E05C1000 80957832
	v_mfma_f32_16x16x32_fp8_fp8 v[180:183], a[196:197], a[4:5], v[180:183]// 000000004A44: D3F300B4 1ED209C4
	v_mfma_f32_16x16x32_fp8_fp8 v[180:183], a[198:199], a[6:7], v[180:183]// 000000004A4C: D3F300B4 1ED20DC6
	ds_read_b128 a[40:43], v2 offset:1024                      // 000000004A54: DBFE0400 28000002
	ds_read_b128 a[44:47], v2 offset:1088                      // 000000004A5C: DBFE0440 2C000002
	v_mfma_f32_16x16x32_fp8_fp8 v[192:195], a[200:201], a[0:1], v[192:195]// 000000004A64: D3F300C0 1F0201C8
	v_mfma_f32_16x16x32_fp8_fp8 v[192:195], a[202:203], a[2:3], v[192:195]// 000000004A6C: D3F300C0 1F0205CA
	buffer_load_dwordx4 a[124:127], v50, s[84:87], 0 offen offset:1024// 000000004A74: E05C1400 80957C32
	v_mfma_f32_16x16x32_fp8_fp8 v[192:195], a[204:205], a[4:5], v[192:195]// 000000004A7C: D3F300C0 1F0209CC
	v_mfma_f32_16x16x32_fp8_fp8 v[192:195], a[206:207], a[6:7], v[192:195]// 000000004A84: D3F300C0 1F020DCE
	v_mfma_f32_16x16x32_fp8_fp8 v[204:207], a[208:209], a[0:1], v[204:207]// 000000004A8C: D3F300CC 1F3201D0
	v_mfma_f32_16x16x32_fp8_fp8 v[204:207], a[210:211], a[2:3], v[204:207]// 000000004A94: D3F300CC 1F3205D2
	buffer_load_dwordx4 a[128:131], v51, s[84:87], 0 offen     // 000000004A9C: E05C1000 80958033
	v_mfma_f32_16x16x32_fp8_fp8 v[204:207], a[212:213], a[4:5], v[204:207]// 000000004AA4: D3F300CC 1F3209D4
	v_mfma_f32_16x16x32_fp8_fp8 v[204:207], a[214:215], a[6:7], v[204:207]// 000000004AAC: D3F300CC 1F320DD6
	v_mfma_f32_16x16x32_fp8_fp8 v[216:219], a[216:217], a[0:1], v[216:219]// 000000004AB4: D3F300D8 1F6201D8
	v_mfma_f32_16x16x32_fp8_fp8 v[216:219], a[218:219], a[2:3], v[216:219]// 000000004ABC: D3F300D8 1F6205DA
	buffer_load_dwordx4 a[132:135], v51, s[84:87], 0 offen offset:1024// 000000004AC4: E05C1400 80958433
	v_mfma_f32_16x16x32_fp8_fp8 v[216:219], a[220:221], a[4:5], v[216:219]// 000000004ACC: D3F300D8 1F6209DC
	v_mfma_f32_16x16x32_fp8_fp8 v[216:219], a[222:223], a[6:7], v[216:219]// 000000004AD4: D3F300D8 1F620DDE
	v_mfma_f32_16x16x32_fp8_fp8 v[228:231], a[224:225], a[0:1], v[228:231]// 000000004ADC: D3F300E4 1F9201E0
	v_mfma_f32_16x16x32_fp8_fp8 v[228:231], a[226:227], a[2:3], v[228:231]// 000000004AE4: D3F300E4 1F9205E2
	buffer_load_dwordx4 a[136:139], v52, s[84:87], 0 offen     // 000000004AEC: E05C1000 80958834
	v_mfma_f32_16x16x32_fp8_fp8 v[228:231], a[228:229], a[4:5], v[228:231]// 000000004AF4: D3F300E4 1F9209E4
	v_mfma_f32_16x16x32_fp8_fp8 v[228:231], a[230:231], a[6:7], v[228:231]// 000000004AFC: D3F300E4 1F920DE6
	v_mfma_f32_16x16x32_fp8_fp8 v[240:243], a[232:233], a[0:1], v[240:243]// 000000004B04: D3F300F0 1FC201E8
	v_mfma_f32_16x16x32_fp8_fp8 v[240:243], a[234:235], a[2:3], v[240:243]// 000000004B0C: D3F300F0 1FC205EA
	buffer_load_dwordx4 a[140:143], v52, s[84:87], 0 offen offset:1024// 000000004B14: E05C1400 80958C34
	v_mfma_f32_16x16x32_fp8_fp8 v[240:243], a[236:237], a[4:5], v[240:243]// 000000004B1C: D3F300F0 1FC209EC
	v_mfma_f32_16x16x32_fp8_fp8 v[240:243], a[238:239], a[6:7], v[240:243]// 000000004B24: D3F300F0 1FC20DEE
	v_mfma_f32_16x16x32_fp8_fp8 v[160:163], a[176:177], a[8:9], v[160:163]// 000000004B2C: D3F300A0 1E8211B0
	v_mfma_f32_16x16x32_fp8_fp8 v[160:163], a[178:179], a[10:11], v[160:163]// 000000004B34: D3F300A0 1E8215B2
	buffer_load_dwordx4 a[144:147], v53, s[84:87], 0 offen     // 000000004B3C: E05C1000 80959035
	v_mfma_f32_16x16x32_fp8_fp8 v[160:163], a[180:181], a[12:13], v[160:163]// 000000004B44: D3F300A0 1E8219B4
	v_mfma_f32_16x16x32_fp8_fp8 v[160:163], a[182:183], a[14:15], v[160:163]// 000000004B4C: D3F300A0 1E821DB6
	v_mfma_f32_16x16x32_fp8_fp8 v[172:175], a[184:185], a[8:9], v[172:175]// 000000004B54: D3F300AC 1EB211B8
	v_mfma_f32_16x16x32_fp8_fp8 v[172:175], a[186:187], a[10:11], v[172:175]// 000000004B5C: D3F300AC 1EB215BA
	buffer_load_dwordx4 a[148:151], v53, s[84:87], 0 offen offset:1024// 000000004B64: E05C1400 80959435
	v_mfma_f32_16x16x32_fp8_fp8 v[172:175], a[188:189], a[12:13], v[172:175]// 000000004B6C: D3F300AC 1EB219BC
	v_mfma_f32_16x16x32_fp8_fp8 v[172:175], a[190:191], a[14:15], v[172:175]// 000000004B74: D3F300AC 1EB21DBE
	v_mfma_f32_16x16x32_fp8_fp8 v[184:187], a[192:193], a[8:9], v[184:187]// 000000004B7C: D3F300B8 1EE211C0
	v_mfma_f32_16x16x32_fp8_fp8 v[184:187], a[194:195], a[10:11], v[184:187]// 000000004B84: D3F300B8 1EE215C2
	buffer_load_dwordx4 a[152:155], v54, s[84:87], 0 offen     // 000000004B8C: E05C1000 80959836
	v_mfma_f32_16x16x32_fp8_fp8 v[184:187], a[196:197], a[12:13], v[184:187]// 000000004B94: D3F300B8 1EE219C4
	v_mfma_f32_16x16x32_fp8_fp8 v[184:187], a[198:199], a[14:15], v[184:187]// 000000004B9C: D3F300B8 1EE21DC6
	v_mfma_f32_16x16x32_fp8_fp8 v[196:199], a[200:201], a[8:9], v[196:199]// 000000004BA4: D3F300C4 1F1211C8
	v_mfma_f32_16x16x32_fp8_fp8 v[196:199], a[202:203], a[10:11], v[196:199]// 000000004BAC: D3F300C4 1F1215CA
	buffer_load_dwordx4 a[156:159], v54, s[84:87], 0 offen offset:1024// 000000004BB4: E05C1400 80959C36
	v_mfma_f32_16x16x32_fp8_fp8 v[196:199], a[204:205], a[12:13], v[196:199]// 000000004BBC: D3F300C4 1F1219CC
	v_mfma_f32_16x16x32_fp8_fp8 v[196:199], a[206:207], a[14:15], v[196:199]// 000000004BC4: D3F300C4 1F121DCE
	v_mfma_f32_16x16x32_fp8_fp8 v[208:211], a[208:209], a[8:9], v[208:211]// 000000004BCC: D3F300D0 1F4211D0
	v_mfma_f32_16x16x32_fp8_fp8 v[208:211], a[210:211], a[10:11], v[208:211]// 000000004BD4: D3F300D0 1F4215D2
	buffer_load_dwordx4 a[160:163], v55, s[84:87], 0 offen     // 000000004BDC: E05C1000 8095A037
	v_mfma_f32_16x16x32_fp8_fp8 v[208:211], a[212:213], a[12:13], v[208:211]// 000000004BE4: D3F300D0 1F4219D4
	v_mfma_f32_16x16x32_fp8_fp8 v[208:211], a[214:215], a[14:15], v[208:211]// 000000004BEC: D3F300D0 1F421DD6
	v_mfma_f32_16x16x32_fp8_fp8 v[220:223], a[216:217], a[8:9], v[220:223]// 000000004BF4: D3F300DC 1F7211D8
	v_mfma_f32_16x16x32_fp8_fp8 v[220:223], a[218:219], a[10:11], v[220:223]// 000000004BFC: D3F300DC 1F7215DA
	buffer_load_dwordx4 a[164:167], v55, s[84:87], 0 offen offset:1024// 000000004C04: E05C1400 8095A437
	v_mfma_f32_16x16x32_fp8_fp8 v[220:223], a[220:221], a[12:13], v[220:223]// 000000004C0C: D3F300DC 1F7219DC
	v_mfma_f32_16x16x32_fp8_fp8 v[220:223], a[222:223], a[14:15], v[220:223]// 000000004C14: D3F300DC 1F721DDE
	v_mfma_f32_16x16x32_fp8_fp8 v[232:235], a[224:225], a[8:9], v[232:235]// 000000004C1C: D3F300E8 1FA211E0
	v_mfma_f32_16x16x32_fp8_fp8 v[232:235], a[226:227], a[10:11], v[232:235]// 000000004C24: D3F300E8 1FA215E2
	buffer_load_dwordx4 a[168:171], v56, s[84:87], 0 offen     // 000000004C2C: E05C1000 8095A838
	v_mfma_f32_16x16x32_fp8_fp8 v[232:235], a[228:229], a[12:13], v[232:235]// 000000004C34: D3F300E8 1FA219E4
	v_mfma_f32_16x16x32_fp8_fp8 v[232:235], a[230:231], a[14:15], v[232:235]// 000000004C3C: D3F300E8 1FA21DE6
	v_mfma_f32_16x16x32_fp8_fp8 v[244:247], a[232:233], a[8:9], v[244:247]// 000000004C44: D3F300F4 1FD211E8
	v_mfma_f32_16x16x32_fp8_fp8 v[244:247], a[234:235], a[10:11], v[244:247]// 000000004C4C: D3F300F4 1FD215EA
	buffer_load_dwordx4 a[172:175], v56, s[84:87], 0 offen offset:1024// 000000004C54: E05C1400 8095AC38
	v_mfma_f32_16x16x32_fp8_fp8 v[244:247], a[236:237], a[12:13], v[244:247]// 000000004C5C: D3F300F4 1FD219EC
	v_mfma_f32_16x16x32_fp8_fp8 v[244:247], a[238:239], a[14:15], v[244:247]// 000000004C64: D3F300F4 1FD21DEE
	v_mfma_f32_16x16x32_fp8_fp8 v[164:167], a[176:177], a[16:17], v[164:167]// 000000004C6C: D3F300A4 1E9221B0
	v_mfma_f32_16x16x32_fp8_fp8 v[164:167], a[178:179], a[18:19], v[164:167]// 000000004C74: D3F300A4 1E9225B2
	v_mfma_f32_16x16x32_fp8_fp8 v[164:167], a[180:181], a[20:21], v[164:167]// 000000004C7C: D3F300A4 1E9229B4
	v_mfma_f32_16x16x32_fp8_fp8 v[164:167], a[182:183], a[22:23], v[164:167]// 000000004C84: D3F300A4 1E922DB6
	v_mfma_f32_16x16x32_fp8_fp8 v[176:179], a[184:185], a[16:17], v[176:179]// 000000004C8C: D3F300B0 1EC221B8
	v_mfma_f32_16x16x32_fp8_fp8 v[176:179], a[186:187], a[18:19], v[176:179]// 000000004C94: D3F300B0 1EC225BA
	v_mfma_f32_16x16x32_fp8_fp8 v[176:179], a[188:189], a[20:21], v[176:179]// 000000004C9C: D3F300B0 1EC229BC
	v_mfma_f32_16x16x32_fp8_fp8 v[176:179], a[190:191], a[22:23], v[176:179]// 000000004CA4: D3F300B0 1EC22DBE
	v_mfma_f32_16x16x32_fp8_fp8 v[188:191], a[192:193], a[16:17], v[188:191]// 000000004CAC: D3F300BC 1EF221C0
	v_mfma_f32_16x16x32_fp8_fp8 v[188:191], a[194:195], a[18:19], v[188:191]// 000000004CB4: D3F300BC 1EF225C2
	v_mfma_f32_16x16x32_fp8_fp8 v[188:191], a[196:197], a[20:21], v[188:191]// 000000004CBC: D3F300BC 1EF229C4
	v_mfma_f32_16x16x32_fp8_fp8 v[188:191], a[198:199], a[22:23], v[188:191]// 000000004CC4: D3F300BC 1EF22DC6
	v_mfma_f32_16x16x32_fp8_fp8 v[200:203], a[200:201], a[16:17], v[200:203]// 000000004CCC: D3F300C8 1F2221C8
	v_mfma_f32_16x16x32_fp8_fp8 v[200:203], a[202:203], a[18:19], v[200:203]// 000000004CD4: D3F300C8 1F2225CA
	v_mfma_f32_16x16x32_fp8_fp8 v[200:203], a[204:205], a[20:21], v[200:203]// 000000004CDC: D3F300C8 1F2229CC
	v_mfma_f32_16x16x32_fp8_fp8 v[200:203], a[206:207], a[22:23], v[200:203]// 000000004CE4: D3F300C8 1F222DCE
	v_mfma_f32_16x16x32_fp8_fp8 v[212:215], a[208:209], a[16:17], v[212:215]// 000000004CEC: D3F300D4 1F5221D0
	v_mfma_f32_16x16x32_fp8_fp8 v[212:215], a[210:211], a[18:19], v[212:215]// 000000004CF4: D3F300D4 1F5225D2
	v_mfma_f32_16x16x32_fp8_fp8 v[212:215], a[212:213], a[20:21], v[212:215]// 000000004CFC: D3F300D4 1F5229D4
	v_mfma_f32_16x16x32_fp8_fp8 v[212:215], a[214:215], a[22:23], v[212:215]// 000000004D04: D3F300D4 1F522DD6
	v_mfma_f32_16x16x32_fp8_fp8 v[224:227], a[216:217], a[16:17], v[224:227]// 000000004D0C: D3F300E0 1F8221D8
	v_mfma_f32_16x16x32_fp8_fp8 v[224:227], a[218:219], a[18:19], v[224:227]// 000000004D14: D3F300E0 1F8225DA
	v_mfma_f32_16x16x32_fp8_fp8 v[224:227], a[220:221], a[20:21], v[224:227]// 000000004D1C: D3F300E0 1F8229DC
	v_mfma_f32_16x16x32_fp8_fp8 v[224:227], a[222:223], a[22:23], v[224:227]// 000000004D24: D3F300E0 1F822DDE
	v_mfma_f32_16x16x32_fp8_fp8 v[236:239], a[224:225], a[16:17], v[236:239]// 000000004D2C: D3F300EC 1FB221E0
	s_add_u32 s60, 0x180, s80                                  // 000000004D34: 803C50FF 00000180
	s_cmp_lt_u32 s60, s81                                      // 000000004D3C: BF0A513C
	s_cselect_b32 s57, s57, 0                                  // 000000004D40: 85398039
	v_mfma_f32_16x16x32_fp8_fp8 v[236:239], a[226:227], a[18:19], v[236:239]// 000000004D44: D3F300EC 1FB225E2
	s_add_u32 s60, 0x100, s80                                  // 000000004D4C: 803C50FF 00000100
	s_cmp_lt_u32 s60, s81                                      // 000000004D54: BF0A513C
	s_cselect_b32 s58, s58, 0                                  // 000000004D58: 853A803A
	v_mfma_f32_16x16x32_fp8_fp8 v[236:239], a[228:229], a[20:21], v[236:239]// 000000004D5C: D3F300EC 1FB229E4
	s_add_u32 s60, 0x100, s80                                  // 000000004D64: 803C50FF 00000100
	s_cmp_lt_u32 s60, s81                                      // 000000004D6C: BF0A513C
	s_cselect_b32 s83, s83, 0                                  // 000000004D70: 85538053
	v_mfma_f32_16x16x32_fp8_fp8 v[236:239], a[230:231], a[22:23], v[236:239]// 000000004D74: D3F300EC 1FB22DE6
	s_add_u32 s24, s58, s24                                    // 000000004D7C: 8018183A
	s_addc_u32 s25, 0, s25                                     // 000000004D80: 82191980
	v_mfma_f32_16x16x32_fp8_fp8 v[248:251], a[232:233], a[16:17], v[248:251]// 000000004D84: D3F300F8 1FE221E8
	s_add_u32 s20, s57, s20                                    // 000000004D8C: 80141439
	s_addc_u32 s21, 0, s21                                     // 000000004D90: 82151580
	v_mfma_f32_16x16x32_fp8_fp8 v[248:251], a[234:235], a[18:19], v[248:251]// 000000004D94: D3F300F8 1FE225EA
	s_add_u32 s84, s83, s84                                    // 000000004D9C: 80545453
	s_addc_u32 s85, 0, s85                                     // 000000004DA0: 82555580
	v_mfma_f32_16x16x32_fp8_fp8 v[248:251], a[236:237], a[20:21], v[248:251]// 000000004DA4: D3F300F8 1FE229EC
	v_mfma_f32_16x16x32_fp8_fp8 v[248:251], a[238:239], a[22:23], v[248:251]// 000000004DAC: D3F300F8 1FE22DEE
	s_addk_i32 s80, 0x80                                       // 000000004DB4: B7500080
	s_cmp_lt_i32 s80, s81                                      // 000000004DB8: BF045150
	s_cbranch_scc0 label_0EE2                                  // 000000004DBC: BF8405F2
	s_waitcnt vmcnt(22) lgkmcnt(0)                             // 000000004DC0: BF8C4076
	v_mfma_f32_16x16x32_fp8_fp8 v[60:63], a[48:49], a[24:25], v[60:63]// 000000004DC4: D3F3003C 1CF23130
	v_mfma_f32_16x16x32_fp8_fp8 v[60:63], a[50:51], a[26:27], v[60:63]// 000000004DCC: D3F3003C 1CF23532
	buffer_load_dwordx4 a[176:179], v49, s[24:27], 0 offen     // 000000004DD4: E05C1000 8086B031
	v_mfma_f32_16x16x32_fp8_fp8 v[60:63], a[52:53], a[28:29], v[60:63]// 000000004DDC: D3F3003C 1CF23934
	v_mfma_f32_16x16x32_fp8_fp8 v[60:63], a[54:55], a[30:31], v[60:63]// 000000004DE4: D3F3003C 1CF23D36
	v_mfma_f32_16x16x32_fp8_fp8 v[72:75], a[56:57], a[24:25], v[72:75]// 000000004DEC: D3F30048 1D223138
	v_mfma_f32_16x16x32_fp8_fp8 v[72:75], a[58:59], a[26:27], v[72:75]// 000000004DF4: D3F30048 1D22353A
	buffer_load_dwordx4 a[180:183], v49, s[24:27], 0 offen offset:1024// 000000004DFC: E05C1400 8086B431
	v_mfma_f32_16x16x32_fp8_fp8 v[72:75], a[60:61], a[28:29], v[72:75]// 000000004E04: D3F30048 1D22393C
	v_mfma_f32_16x16x32_fp8_fp8 v[72:75], a[62:63], a[30:31], v[72:75]// 000000004E0C: D3F30048 1D223D3E
	v_mfma_f32_16x16x32_fp8_fp8 v[84:87], a[64:65], a[24:25], v[84:87]// 000000004E14: D3F30054 1D523140
	v_mfma_f32_16x16x32_fp8_fp8 v[84:87], a[66:67], a[26:27], v[84:87]// 000000004E1C: D3F30054 1D523542
	buffer_load_dwordx4 a[184:187], v50, s[24:27], 0 offen     // 000000004E24: E05C1000 8086B832
	v_mfma_f32_16x16x32_fp8_fp8 v[84:87], a[68:69], a[28:29], v[84:87]// 000000004E2C: D3F30054 1D523944
	v_mfma_f32_16x16x32_fp8_fp8 v[84:87], a[70:71], a[30:31], v[84:87]// 000000004E34: D3F30054 1D523D46
	v_mfma_f32_16x16x32_fp8_fp8 v[96:99], a[72:73], a[24:25], v[96:99]// 000000004E3C: D3F30060 1D823148
	v_mfma_f32_16x16x32_fp8_fp8 v[96:99], a[74:75], a[26:27], v[96:99]// 000000004E44: D3F30060 1D82354A
	buffer_load_dwordx4 a[188:191], v50, s[24:27], 0 offen offset:1024// 000000004E4C: E05C1400 8086BC32
	v_mfma_f32_16x16x32_fp8_fp8 v[96:99], a[76:77], a[28:29], v[96:99]// 000000004E54: D3F30060 1D82394C
	v_mfma_f32_16x16x32_fp8_fp8 v[96:99], a[78:79], a[30:31], v[96:99]// 000000004E5C: D3F30060 1D823D4E
	v_mfma_f32_16x16x32_fp8_fp8 v[108:111], a[80:81], a[24:25], v[108:111]// 000000004E64: D3F3006C 1DB23150
	v_mfma_f32_16x16x32_fp8_fp8 v[108:111], a[82:83], a[26:27], v[108:111]// 000000004E6C: D3F3006C 1DB23552
	buffer_load_dwordx4 a[192:195], v51, s[24:27], 0 offen     // 000000004E74: E05C1000 8086C033
	v_mfma_f32_16x16x32_fp8_fp8 v[108:111], a[84:85], a[28:29], v[108:111]// 000000004E7C: D3F3006C 1DB23954
	v_mfma_f32_16x16x32_fp8_fp8 v[108:111], a[86:87], a[30:31], v[108:111]// 000000004E84: D3F3006C 1DB23D56
	v_mfma_f32_16x16x32_fp8_fp8 v[120:123], a[88:89], a[24:25], v[120:123]// 000000004E8C: D3F30078 1DE23158
	v_mfma_f32_16x16x32_fp8_fp8 v[120:123], a[90:91], a[26:27], v[120:123]// 000000004E94: D3F30078 1DE2355A
	buffer_load_dwordx4 a[196:199], v51, s[24:27], 0 offen offset:1024// 000000004E9C: E05C1400 8086C433
	v_mfma_f32_16x16x32_fp8_fp8 v[120:123], a[92:93], a[28:29], v[120:123]// 000000004EA4: D3F30078 1DE2395C
	v_mfma_f32_16x16x32_fp8_fp8 v[120:123], a[94:95], a[30:31], v[120:123]// 000000004EAC: D3F30078 1DE23D5E
	v_mfma_f32_16x16x32_fp8_fp8 v[132:135], a[96:97], a[24:25], v[132:135]// 000000004EB4: D3F30084 1E123160
	v_mfma_f32_16x16x32_fp8_fp8 v[132:135], a[98:99], a[26:27], v[132:135]// 000000004EBC: D3F30084 1E123562
	buffer_load_dwordx4 a[200:203], v52, s[24:27], 0 offen     // 000000004EC4: E05C1000 8086C834
	v_mfma_f32_16x16x32_fp8_fp8 v[132:135], a[100:101], a[28:29], v[132:135]// 000000004ECC: D3F30084 1E123964
	v_mfma_f32_16x16x32_fp8_fp8 v[132:135], a[102:103], a[30:31], v[132:135]// 000000004ED4: D3F30084 1E123D66
	v_mfma_f32_16x16x32_fp8_fp8 v[144:147], a[104:105], a[24:25], v[144:147]// 000000004EDC: D3F30090 1E423168
	v_mfma_f32_16x16x32_fp8_fp8 v[144:147], a[106:107], a[26:27], v[144:147]// 000000004EE4: D3F30090 1E42356A
	buffer_load_dwordx4 a[204:207], v52, s[24:27], 0 offen offset:1024// 000000004EEC: E05C1400 8086CC34
	v_mfma_f32_16x16x32_fp8_fp8 v[144:147], a[108:109], a[28:29], v[144:147]// 000000004EF4: D3F30090 1E42396C
	v_mfma_f32_16x16x32_fp8_fp8 v[144:147], a[110:111], a[30:31], v[144:147]// 000000004EFC: D3F30090 1E423D6E
	v_mfma_f32_16x16x32_fp8_fp8 v[64:67], a[48:49], a[32:33], v[64:67]// 000000004F04: D3F30040 1D024130
	v_mfma_f32_16x16x32_fp8_fp8 v[64:67], a[50:51], a[34:35], v[64:67]// 000000004F0C: D3F30040 1D024532
	buffer_load_dwordx4 a[208:211], v53, s[24:27], 0 offen     // 000000004F14: E05C1000 8086D035
	v_mfma_f32_16x16x32_fp8_fp8 v[64:67], a[52:53], a[36:37], v[64:67]// 000000004F1C: D3F30040 1D024934
	v_mfma_f32_16x16x32_fp8_fp8 v[64:67], a[54:55], a[38:39], v[64:67]// 000000004F24: D3F30040 1D024D36
	v_mfma_f32_16x16x32_fp8_fp8 v[76:79], a[56:57], a[32:33], v[76:79]// 000000004F2C: D3F3004C 1D324138
	v_mfma_f32_16x16x32_fp8_fp8 v[76:79], a[58:59], a[34:35], v[76:79]// 000000004F34: D3F3004C 1D32453A
	buffer_load_dwordx4 a[212:215], v53, s[24:27], 0 offen offset:1024// 000000004F3C: E05C1400 8086D435
	v_mfma_f32_16x16x32_fp8_fp8 v[76:79], a[60:61], a[36:37], v[76:79]// 000000004F44: D3F3004C 1D32493C
	v_mfma_f32_16x16x32_fp8_fp8 v[76:79], a[62:63], a[38:39], v[76:79]// 000000004F4C: D3F3004C 1D324D3E
	v_mfma_f32_16x16x32_fp8_fp8 v[88:91], a[64:65], a[32:33], v[88:91]// 000000004F54: D3F30058 1D624140
	v_mfma_f32_16x16x32_fp8_fp8 v[88:91], a[66:67], a[34:35], v[88:91]// 000000004F5C: D3F30058 1D624542
	buffer_load_dwordx4 a[216:219], v54, s[24:27], 0 offen     // 000000004F64: E05C1000 8086D836
	v_mfma_f32_16x16x32_fp8_fp8 v[88:91], a[68:69], a[36:37], v[88:91]// 000000004F6C: D3F30058 1D624944
	v_mfma_f32_16x16x32_fp8_fp8 v[88:91], a[70:71], a[38:39], v[88:91]// 000000004F74: D3F30058 1D624D46
	v_mfma_f32_16x16x32_fp8_fp8 v[100:103], a[72:73], a[32:33], v[100:103]// 000000004F7C: D3F30064 1D924148
	v_mfma_f32_16x16x32_fp8_fp8 v[100:103], a[74:75], a[34:35], v[100:103]// 000000004F84: D3F30064 1D92454A
	buffer_load_dwordx4 a[220:223], v54, s[24:27], 0 offen offset:1024// 000000004F8C: E05C1400 8086DC36
	v_mfma_f32_16x16x32_fp8_fp8 v[100:103], a[76:77], a[36:37], v[100:103]// 000000004F94: D3F30064 1D92494C
	v_mfma_f32_16x16x32_fp8_fp8 v[100:103], a[78:79], a[38:39], v[100:103]// 000000004F9C: D3F30064 1D924D4E
	v_mfma_f32_16x16x32_fp8_fp8 v[112:115], a[80:81], a[32:33], v[112:115]// 000000004FA4: D3F30070 1DC24150
	v_mfma_f32_16x16x32_fp8_fp8 v[112:115], a[82:83], a[34:35], v[112:115]// 000000004FAC: D3F30070 1DC24552
	buffer_load_dwordx4 a[224:227], v55, s[24:27], 0 offen     // 000000004FB4: E05C1000 8086E037
	v_mfma_f32_16x16x32_fp8_fp8 v[112:115], a[84:85], a[36:37], v[112:115]// 000000004FBC: D3F30070 1DC24954
	v_mfma_f32_16x16x32_fp8_fp8 v[112:115], a[86:87], a[38:39], v[112:115]// 000000004FC4: D3F30070 1DC24D56
	v_mfma_f32_16x16x32_fp8_fp8 v[124:127], a[88:89], a[32:33], v[124:127]// 000000004FCC: D3F3007C 1DF24158
	v_mfma_f32_16x16x32_fp8_fp8 v[124:127], a[90:91], a[34:35], v[124:127]// 000000004FD4: D3F3007C 1DF2455A
	buffer_load_dwordx4 a[228:231], v55, s[24:27], 0 offen offset:1024// 000000004FDC: E05C1400 8086E437
	v_mfma_f32_16x16x32_fp8_fp8 v[124:127], a[92:93], a[36:37], v[124:127]// 000000004FE4: D3F3007C 1DF2495C
	v_mfma_f32_16x16x32_fp8_fp8 v[124:127], a[94:95], a[38:39], v[124:127]// 000000004FEC: D3F3007C 1DF24D5E
	v_mfma_f32_16x16x32_fp8_fp8 v[136:139], a[96:97], a[32:33], v[136:139]// 000000004FF4: D3F30088 1E224160
	v_mfma_f32_16x16x32_fp8_fp8 v[136:139], a[98:99], a[34:35], v[136:139]// 000000004FFC: D3F30088 1E224562
	buffer_load_dwordx4 a[232:235], v56, s[24:27], 0 offen     // 000000005004: E05C1000 8086E838
	v_mfma_f32_16x16x32_fp8_fp8 v[136:139], a[100:101], a[36:37], v[136:139]// 00000000500C: D3F30088 1E224964
	v_mfma_f32_16x16x32_fp8_fp8 v[136:139], a[102:103], a[38:39], v[136:139]// 000000005014: D3F30088 1E224D66
	v_mfma_f32_16x16x32_fp8_fp8 v[148:151], a[104:105], a[32:33], v[148:151]// 00000000501C: D3F30094 1E524168
	v_mfma_f32_16x16x32_fp8_fp8 v[148:151], a[106:107], a[34:35], v[148:151]// 000000005024: D3F30094 1E52456A
	buffer_load_dwordx4 a[236:239], v56, s[24:27], 0 offen offset:1024// 00000000502C: E05C1400 8086EC38
	buffer_load_dword v43, s[20:23], 0 offen lds               // 000000005034: E0511000 8005002B
	s_add_u32 m0, 0x100, s50                                   // 00000000503C: 807C32FF 00000100
	v_mfma_f32_16x16x32_fp8_fp8 v[148:151], a[108:109], a[36:37], v[148:151]// 000000005044: D3F30094 1E52496C
	v_mfma_f32_16x16x32_fp8_fp8 v[148:151], a[110:111], a[38:39], v[148:151]// 00000000504C: D3F30094 1E524D6E
	buffer_load_dword v44, s[20:23], 0 offen lds               // 000000005054: E0511000 8005002C
	s_add_u32 m0, 0x200, s50                                   // 00000000505C: 807C32FF 00000200
	v_mfma_f32_16x16x32_fp8_fp8 v[68:71], a[48:49], a[40:41], v[68:71]// 000000005064: D3F30044 1D125130
	v_mfma_f32_16x16x32_fp8_fp8 v[68:71], a[50:51], a[42:43], v[68:71]// 00000000506C: D3F30044 1D125532
	buffer_load_dword v45, s[20:23], 0 offen lds               // 000000005074: E0511000 8005002D
	s_add_u32 m0, 0x300, s50                                   // 00000000507C: 807C32FF 00000300
	v_mfma_f32_16x16x32_fp8_fp8 v[68:71], a[52:53], a[44:45], v[68:71]// 000000005084: D3F30044 1D125934
	v_mfma_f32_16x16x32_fp8_fp8 v[68:71], a[54:55], a[46:47], v[68:71]// 00000000508C: D3F30044 1D125D36
	buffer_load_dword v46, s[20:23], 0 offen lds               // 000000005094: E0511000 8005002E
	s_add_u32 m0, 0x400, s50                                   // 00000000509C: 807C32FF 00000400
	v_mfma_f32_16x16x32_fp8_fp8 v[80:83], a[56:57], a[40:41], v[80:83]// 0000000050A4: D3F30050 1D425138
	v_mfma_f32_16x16x32_fp8_fp8 v[80:83], a[58:59], a[42:43], v[80:83]// 0000000050AC: D3F30050 1D42553A
	buffer_load_dword v47, s[20:23], 0 offen lds               // 0000000050B4: E0511000 8005002F
	s_add_u32 m0, 0x500, s50                                   // 0000000050BC: 807C32FF 00000500
	v_mfma_f32_16x16x32_fp8_fp8 v[80:83], a[60:61], a[44:45], v[80:83]// 0000000050C4: D3F30050 1D42593C
	v_mfma_f32_16x16x32_fp8_fp8 v[80:83], a[62:63], a[46:47], v[80:83]// 0000000050CC: D3F30050 1D425D3E
	buffer_load_dword v48, s[20:23], 0 offen lds               // 0000000050D4: E0511000 80050030
	s_add_u32 m0, 0, s48                                       // 0000000050DC: 807C3080
	v_mfma_f32_16x16x32_fp8_fp8 v[92:95], a[64:65], a[40:41], v[92:95]// 0000000050E0: D3F3005C 1D725140
	v_mfma_f32_16x16x32_fp8_fp8 v[92:95], a[66:67], a[42:43], v[92:95]// 0000000050E8: D3F3005C 1D725542
	v_mfma_f32_16x16x32_fp8_fp8 v[92:95], a[68:69], a[44:45], v[92:95]// 0000000050F0: D3F3005C 1D725944
	v_mfma_f32_16x16x32_fp8_fp8 v[92:95], a[70:71], a[46:47], v[92:95]// 0000000050F8: D3F3005C 1D725D46
	v_mfma_f32_16x16x32_fp8_fp8 v[104:107], a[72:73], a[40:41], v[104:107]// 000000005100: D3F30068 1DA25148
	v_mfma_f32_16x16x32_fp8_fp8 v[104:107], a[74:75], a[42:43], v[104:107]// 000000005108: D3F30068 1DA2554A
	v_mfma_f32_16x16x32_fp8_fp8 v[104:107], a[76:77], a[44:45], v[104:107]// 000000005110: D3F30068 1DA2594C
	v_mfma_f32_16x16x32_fp8_fp8 v[104:107], a[78:79], a[46:47], v[104:107]// 000000005118: D3F30068 1DA25D4E
	v_mfma_f32_16x16x32_fp8_fp8 v[116:119], a[80:81], a[40:41], v[116:119]// 000000005120: D3F30074 1DD25150
	v_mfma_f32_16x16x32_fp8_fp8 v[116:119], a[82:83], a[42:43], v[116:119]// 000000005128: D3F30074 1DD25552
	v_mfma_f32_16x16x32_fp8_fp8 v[116:119], a[84:85], a[44:45], v[116:119]// 000000005130: D3F30074 1DD25954
	v_mfma_f32_16x16x32_fp8_fp8 v[116:119], a[86:87], a[46:47], v[116:119]// 000000005138: D3F30074 1DD25D56
	v_mfma_f32_16x16x32_fp8_fp8 v[128:131], a[88:89], a[40:41], v[128:131]// 000000005140: D3F30080 1E025158
	v_mfma_f32_16x16x32_fp8_fp8 v[128:131], a[90:91], a[42:43], v[128:131]// 000000005148: D3F30080 1E02555A
	v_mfma_f32_16x16x32_fp8_fp8 v[128:131], a[92:93], a[44:45], v[128:131]// 000000005150: D3F30080 1E02595C
	v_mfma_f32_16x16x32_fp8_fp8 v[128:131], a[94:95], a[46:47], v[128:131]// 000000005158: D3F30080 1E025D5E
	v_mfma_f32_16x16x32_fp8_fp8 v[140:143], a[96:97], a[40:41], v[140:143]// 000000005160: D3F3008C 1E325160
	v_mfma_f32_16x16x32_fp8_fp8 v[140:143], a[98:99], a[42:43], v[140:143]// 000000005168: D3F3008C 1E325562
	v_mfma_f32_16x16x32_fp8_fp8 v[140:143], a[100:101], a[44:45], v[140:143]// 000000005170: D3F3008C 1E325964
	v_mfma_f32_16x16x32_fp8_fp8 v[140:143], a[102:103], a[46:47], v[140:143]// 000000005178: D3F3008C 1E325D66
	v_mfma_f32_16x16x32_fp8_fp8 v[152:155], a[104:105], a[40:41], v[152:155]// 000000005180: D3F30098 1E625168
	v_mfma_f32_16x16x32_fp8_fp8 v[152:155], a[106:107], a[42:43], v[152:155]// 000000005188: D3F30098 1E62556A
	v_mfma_f32_16x16x32_fp8_fp8 v[152:155], a[108:109], a[44:45], v[152:155]// 000000005190: D3F30098 1E62596C
	v_mfma_f32_16x16x32_fp8_fp8 v[152:155], a[110:111], a[46:47], v[152:155]// 000000005198: D3F30098 1E625D6E
	s_waitcnt vmcnt(22)                                        // 0000000051A0: BF8C4F76
	s_barrier                                                  // 0000000051A4: BF8A0000
	v_mfma_f32_16x16x32_fp8_fp8 v[156:159], a[112:113], a[24:25], v[156:159]// 0000000051A8: D3F3009C 1E723170
	v_mfma_f32_16x16x32_fp8_fp8 v[156:159], a[114:115], a[26:27], v[156:159]// 0000000051B0: D3F3009C 1E723572
	buffer_load_dwordx4 a[48:51], v49, s[84:87], 0 offen       // 0000000051B8: E05C1000 80953031
	v_mfma_f32_16x16x32_fp8_fp8 v[156:159], a[116:117], a[28:29], v[156:159]// 0000000051C0: D3F3009C 1E723974
	v_mfma_f32_16x16x32_fp8_fp8 v[156:159], a[118:119], a[30:31], v[156:159]// 0000000051C8: D3F3009C 1E723D76
	ds_read_b128 a[0:3], v2 offset:6272                        // 0000000051D0: DBFE1880 00000002
	ds_read_b128 a[4:7], v2 offset:6336                        // 0000000051D8: DBFE18C0 04000002
	v_mfma_f32_16x16x32_fp8_fp8 v[168:171], a[120:121], a[24:25], v[168:171]// 0000000051E0: D3F300A8 1EA23178
	v_mfma_f32_16x16x32_fp8_fp8 v[168:171], a[122:123], a[26:27], v[168:171]// 0000000051E8: D3F300A8 1EA2357A
	buffer_load_dwordx4 a[52:55], v49, s[84:87], 0 offen offset:1024// 0000000051F0: E05C1400 80953431
	v_mfma_f32_16x16x32_fp8_fp8 v[168:171], a[124:125], a[28:29], v[168:171]// 0000000051F8: D3F300A8 1EA2397C
	v_mfma_f32_16x16x32_fp8_fp8 v[168:171], a[126:127], a[30:31], v[168:171]// 000000005200: D3F300A8 1EA23D7E
	ds_read_b128 a[8:11], v2 offset:6784                       // 000000005208: DBFE1A80 08000002
	ds_read_b128 a[12:15], v2 offset:6848                      // 000000005210: DBFE1AC0 0C000002
	v_mfma_f32_16x16x32_fp8_fp8 v[180:183], a[128:129], a[24:25], v[180:183]// 000000005218: D3F300B4 1ED23180
	v_mfma_f32_16x16x32_fp8_fp8 v[180:183], a[130:131], a[26:27], v[180:183]// 000000005220: D3F300B4 1ED23582
	buffer_load_dwordx4 a[56:59], v50, s[84:87], 0 offen       // 000000005228: E05C1000 80953832
	v_mfma_f32_16x16x32_fp8_fp8 v[180:183], a[132:133], a[28:29], v[180:183]// 000000005230: D3F300B4 1ED23984
	v_mfma_f32_16x16x32_fp8_fp8 v[180:183], a[134:135], a[30:31], v[180:183]// 000000005238: D3F300B4 1ED23D86
	ds_read_b128 a[16:19], v2 offset:7296                      // 000000005240: DBFE1C80 10000002
	ds_read_b128 a[20:23], v2 offset:7360                      // 000000005248: DBFE1CC0 14000002
	v_mfma_f32_16x16x32_fp8_fp8 v[192:195], a[136:137], a[24:25], v[192:195]// 000000005250: D3F300C0 1F023188
	v_mfma_f32_16x16x32_fp8_fp8 v[192:195], a[138:139], a[26:27], v[192:195]// 000000005258: D3F300C0 1F02358A
	buffer_load_dwordx4 a[60:63], v50, s[84:87], 0 offen offset:1024// 000000005260: E05C1400 80953C32
	v_mfma_f32_16x16x32_fp8_fp8 v[192:195], a[140:141], a[28:29], v[192:195]// 000000005268: D3F300C0 1F02398C
	v_mfma_f32_16x16x32_fp8_fp8 v[192:195], a[142:143], a[30:31], v[192:195]// 000000005270: D3F300C0 1F023D8E
	v_mfma_f32_16x16x32_fp8_fp8 v[204:207], a[144:145], a[24:25], v[204:207]// 000000005278: D3F300CC 1F323190
	v_mfma_f32_16x16x32_fp8_fp8 v[204:207], a[146:147], a[26:27], v[204:207]// 000000005280: D3F300CC 1F323592
	buffer_load_dwordx4 a[64:67], v51, s[84:87], 0 offen       // 000000005288: E05C1000 80954033
	v_mfma_f32_16x16x32_fp8_fp8 v[204:207], a[148:149], a[28:29], v[204:207]// 000000005290: D3F300CC 1F323994
	v_mfma_f32_16x16x32_fp8_fp8 v[204:207], a[150:151], a[30:31], v[204:207]// 000000005298: D3F300CC 1F323D96
	v_mfma_f32_16x16x32_fp8_fp8 v[216:219], a[152:153], a[24:25], v[216:219]// 0000000052A0: D3F300D8 1F623198
	v_mfma_f32_16x16x32_fp8_fp8 v[216:219], a[154:155], a[26:27], v[216:219]// 0000000052A8: D3F300D8 1F62359A
	buffer_load_dwordx4 a[68:71], v51, s[84:87], 0 offen offset:1024// 0000000052B0: E05C1400 80954433
	v_mfma_f32_16x16x32_fp8_fp8 v[216:219], a[156:157], a[28:29], v[216:219]// 0000000052B8: D3F300D8 1F62399C
	v_mfma_f32_16x16x32_fp8_fp8 v[216:219], a[158:159], a[30:31], v[216:219]// 0000000052C0: D3F300D8 1F623D9E
	v_mfma_f32_16x16x32_fp8_fp8 v[228:231], a[160:161], a[24:25], v[228:231]// 0000000052C8: D3F300E4 1F9231A0
	v_mfma_f32_16x16x32_fp8_fp8 v[228:231], a[162:163], a[26:27], v[228:231]// 0000000052D0: D3F300E4 1F9235A2
	buffer_load_dwordx4 a[72:75], v52, s[84:87], 0 offen       // 0000000052D8: E05C1000 80954834
	v_mfma_f32_16x16x32_fp8_fp8 v[228:231], a[164:165], a[28:29], v[228:231]// 0000000052E0: D3F300E4 1F9239A4
	v_mfma_f32_16x16x32_fp8_fp8 v[228:231], a[166:167], a[30:31], v[228:231]// 0000000052E8: D3F300E4 1F923DA6
	v_mfma_f32_16x16x32_fp8_fp8 v[240:243], a[168:169], a[24:25], v[240:243]// 0000000052F0: D3F300F0 1FC231A8
	v_mfma_f32_16x16x32_fp8_fp8 v[240:243], a[170:171], a[26:27], v[240:243]// 0000000052F8: D3F300F0 1FC235AA
	buffer_load_dwordx4 a[76:79], v52, s[84:87], 0 offen offset:1024// 000000005300: E05C1400 80954C34
	v_mfma_f32_16x16x32_fp8_fp8 v[240:243], a[172:173], a[28:29], v[240:243]// 000000005308: D3F300F0 1FC239AC
	v_mfma_f32_16x16x32_fp8_fp8 v[240:243], a[174:175], a[30:31], v[240:243]// 000000005310: D3F300F0 1FC23DAE
	v_mfma_f32_16x16x32_fp8_fp8 v[160:163], a[112:113], a[32:33], v[160:163]// 000000005318: D3F300A0 1E824170
	v_mfma_f32_16x16x32_fp8_fp8 v[160:163], a[114:115], a[34:35], v[160:163]// 000000005320: D3F300A0 1E824572
	buffer_load_dwordx4 a[80:83], v53, s[84:87], 0 offen       // 000000005328: E05C1000 80955035
	v_mfma_f32_16x16x32_fp8_fp8 v[160:163], a[116:117], a[36:37], v[160:163]// 000000005330: D3F300A0 1E824974
	v_mfma_f32_16x16x32_fp8_fp8 v[160:163], a[118:119], a[38:39], v[160:163]// 000000005338: D3F300A0 1E824D76
	v_mfma_f32_16x16x32_fp8_fp8 v[172:175], a[120:121], a[32:33], v[172:175]// 000000005340: D3F300AC 1EB24178
	v_mfma_f32_16x16x32_fp8_fp8 v[172:175], a[122:123], a[34:35], v[172:175]// 000000005348: D3F300AC 1EB2457A
	buffer_load_dwordx4 a[84:87], v53, s[84:87], 0 offen offset:1024// 000000005350: E05C1400 80955435
	v_mfma_f32_16x16x32_fp8_fp8 v[172:175], a[124:125], a[36:37], v[172:175]// 000000005358: D3F300AC 1EB2497C
	v_mfma_f32_16x16x32_fp8_fp8 v[172:175], a[126:127], a[38:39], v[172:175]// 000000005360: D3F300AC 1EB24D7E
	v_mfma_f32_16x16x32_fp8_fp8 v[184:187], a[128:129], a[32:33], v[184:187]// 000000005368: D3F300B8 1EE24180
	v_mfma_f32_16x16x32_fp8_fp8 v[184:187], a[130:131], a[34:35], v[184:187]// 000000005370: D3F300B8 1EE24582
	buffer_load_dwordx4 a[88:91], v54, s[84:87], 0 offen       // 000000005378: E05C1000 80955836
	v_mfma_f32_16x16x32_fp8_fp8 v[184:187], a[132:133], a[36:37], v[184:187]// 000000005380: D3F300B8 1EE24984
	v_mfma_f32_16x16x32_fp8_fp8 v[184:187], a[134:135], a[38:39], v[184:187]// 000000005388: D3F300B8 1EE24D86
	v_mfma_f32_16x16x32_fp8_fp8 v[196:199], a[136:137], a[32:33], v[196:199]// 000000005390: D3F300C4 1F124188
	v_mfma_f32_16x16x32_fp8_fp8 v[196:199], a[138:139], a[34:35], v[196:199]// 000000005398: D3F300C4 1F12458A
	buffer_load_dwordx4 a[92:95], v54, s[84:87], 0 offen offset:1024// 0000000053A0: E05C1400 80955C36
	v_mfma_f32_16x16x32_fp8_fp8 v[196:199], a[140:141], a[36:37], v[196:199]// 0000000053A8: D3F300C4 1F12498C
	v_mfma_f32_16x16x32_fp8_fp8 v[196:199], a[142:143], a[38:39], v[196:199]// 0000000053B0: D3F300C4 1F124D8E
	v_mfma_f32_16x16x32_fp8_fp8 v[208:211], a[144:145], a[32:33], v[208:211]// 0000000053B8: D3F300D0 1F424190
	v_mfma_f32_16x16x32_fp8_fp8 v[208:211], a[146:147], a[34:35], v[208:211]// 0000000053C0: D3F300D0 1F424592
	buffer_load_dwordx4 a[96:99], v55, s[84:87], 0 offen       // 0000000053C8: E05C1000 80956037
	v_mfma_f32_16x16x32_fp8_fp8 v[208:211], a[148:149], a[36:37], v[208:211]// 0000000053D0: D3F300D0 1F424994
	v_mfma_f32_16x16x32_fp8_fp8 v[208:211], a[150:151], a[38:39], v[208:211]// 0000000053D8: D3F300D0 1F424D96
	v_mfma_f32_16x16x32_fp8_fp8 v[220:223], a[152:153], a[32:33], v[220:223]// 0000000053E0: D3F300DC 1F724198
	v_mfma_f32_16x16x32_fp8_fp8 v[220:223], a[154:155], a[34:35], v[220:223]// 0000000053E8: D3F300DC 1F72459A
	buffer_load_dwordx4 a[100:103], v55, s[84:87], 0 offen offset:1024// 0000000053F0: E05C1400 80956437
	v_mfma_f32_16x16x32_fp8_fp8 v[220:223], a[156:157], a[36:37], v[220:223]// 0000000053F8: D3F300DC 1F72499C
	v_mfma_f32_16x16x32_fp8_fp8 v[220:223], a[158:159], a[38:39], v[220:223]// 000000005400: D3F300DC 1F724D9E
	v_mfma_f32_16x16x32_fp8_fp8 v[232:235], a[160:161], a[32:33], v[232:235]// 000000005408: D3F300E8 1FA241A0
	v_mfma_f32_16x16x32_fp8_fp8 v[232:235], a[162:163], a[34:35], v[232:235]// 000000005410: D3F300E8 1FA245A2
	buffer_load_dwordx4 a[104:107], v56, s[84:87], 0 offen     // 000000005418: E05C1000 80956838
	v_mfma_f32_16x16x32_fp8_fp8 v[232:235], a[164:165], a[36:37], v[232:235]// 000000005420: D3F300E8 1FA249A4
	v_mfma_f32_16x16x32_fp8_fp8 v[232:235], a[166:167], a[38:39], v[232:235]// 000000005428: D3F300E8 1FA24DA6
	v_mfma_f32_16x16x32_fp8_fp8 v[244:247], a[168:169], a[32:33], v[244:247]// 000000005430: D3F300F4 1FD241A8
	v_mfma_f32_16x16x32_fp8_fp8 v[244:247], a[170:171], a[34:35], v[244:247]// 000000005438: D3F300F4 1FD245AA
	buffer_load_dwordx4 a[108:111], v56, s[84:87], 0 offen offset:1024// 000000005440: E05C1400 80956C38
	v_mfma_f32_16x16x32_fp8_fp8 v[244:247], a[172:173], a[36:37], v[244:247]// 000000005448: D3F300F4 1FD249AC
	v_mfma_f32_16x16x32_fp8_fp8 v[244:247], a[174:175], a[38:39], v[244:247]// 000000005450: D3F300F4 1FD24DAE
	v_mfma_f32_16x16x32_fp8_fp8 v[164:167], a[112:113], a[40:41], v[164:167]// 000000005458: D3F300A4 1E925170
	v_mfma_f32_16x16x32_fp8_fp8 v[164:167], a[114:115], a[42:43], v[164:167]// 000000005460: D3F300A4 1E925572
	v_mfma_f32_16x16x32_fp8_fp8 v[164:167], a[116:117], a[44:45], v[164:167]// 000000005468: D3F300A4 1E925974
	v_mfma_f32_16x16x32_fp8_fp8 v[164:167], a[118:119], a[46:47], v[164:167]// 000000005470: D3F300A4 1E925D76
	v_mfma_f32_16x16x32_fp8_fp8 v[176:179], a[120:121], a[40:41], v[176:179]// 000000005478: D3F300B0 1EC25178
	v_mfma_f32_16x16x32_fp8_fp8 v[176:179], a[122:123], a[42:43], v[176:179]// 000000005480: D3F300B0 1EC2557A
	v_mfma_f32_16x16x32_fp8_fp8 v[176:179], a[124:125], a[44:45], v[176:179]// 000000005488: D3F300B0 1EC2597C
	v_mfma_f32_16x16x32_fp8_fp8 v[176:179], a[126:127], a[46:47], v[176:179]// 000000005490: D3F300B0 1EC25D7E
	v_mfma_f32_16x16x32_fp8_fp8 v[188:191], a[128:129], a[40:41], v[188:191]// 000000005498: D3F300BC 1EF25180
	v_mfma_f32_16x16x32_fp8_fp8 v[188:191], a[130:131], a[42:43], v[188:191]// 0000000054A0: D3F300BC 1EF25582
	v_mfma_f32_16x16x32_fp8_fp8 v[188:191], a[132:133], a[44:45], v[188:191]// 0000000054A8: D3F300BC 1EF25984
	v_mfma_f32_16x16x32_fp8_fp8 v[188:191], a[134:135], a[46:47], v[188:191]// 0000000054B0: D3F300BC 1EF25D86
	v_mfma_f32_16x16x32_fp8_fp8 v[200:203], a[136:137], a[40:41], v[200:203]// 0000000054B8: D3F300C8 1F225188
	v_mfma_f32_16x16x32_fp8_fp8 v[200:203], a[138:139], a[42:43], v[200:203]// 0000000054C0: D3F300C8 1F22558A
	v_mfma_f32_16x16x32_fp8_fp8 v[200:203], a[140:141], a[44:45], v[200:203]// 0000000054C8: D3F300C8 1F22598C
	v_mfma_f32_16x16x32_fp8_fp8 v[200:203], a[142:143], a[46:47], v[200:203]// 0000000054D0: D3F300C8 1F225D8E
	v_mfma_f32_16x16x32_fp8_fp8 v[212:215], a[144:145], a[40:41], v[212:215]// 0000000054D8: D3F300D4 1F525190
	v_mfma_f32_16x16x32_fp8_fp8 v[212:215], a[146:147], a[42:43], v[212:215]// 0000000054E0: D3F300D4 1F525592
	v_mfma_f32_16x16x32_fp8_fp8 v[212:215], a[148:149], a[44:45], v[212:215]// 0000000054E8: D3F300D4 1F525994
	v_mfma_f32_16x16x32_fp8_fp8 v[212:215], a[150:151], a[46:47], v[212:215]// 0000000054F0: D3F300D4 1F525D96
	v_mfma_f32_16x16x32_fp8_fp8 v[224:227], a[152:153], a[40:41], v[224:227]// 0000000054F8: D3F300E0 1F825198
	v_mfma_f32_16x16x32_fp8_fp8 v[224:227], a[154:155], a[42:43], v[224:227]// 000000005500: D3F300E0 1F82559A
	v_mfma_f32_16x16x32_fp8_fp8 v[224:227], a[156:157], a[44:45], v[224:227]// 000000005508: D3F300E0 1F82599C
	v_mfma_f32_16x16x32_fp8_fp8 v[224:227], a[158:159], a[46:47], v[224:227]// 000000005510: D3F300E0 1F825D9E
	v_mfma_f32_16x16x32_fp8_fp8 v[236:239], a[160:161], a[40:41], v[236:239]// 000000005518: D3F300EC 1FB251A0
	s_add_u32 s60, 0x180, s80                                  // 000000005520: 803C50FF 00000180
	s_cmp_lt_u32 s60, s81                                      // 000000005528: BF0A513C
	s_cselect_b32 s57, s57, 0                                  // 00000000552C: 85398039
	v_mfma_f32_16x16x32_fp8_fp8 v[236:239], a[162:163], a[42:43], v[236:239]// 000000005530: D3F300EC 1FB255A2
	s_add_u32 s60, 0x100, s80                                  // 000000005538: 803C50FF 00000100
	s_cmp_lt_u32 s60, s81                                      // 000000005540: BF0A513C
	s_cselect_b32 s58, s58, 0                                  // 000000005544: 853A803A
	v_mfma_f32_16x16x32_fp8_fp8 v[236:239], a[164:165], a[44:45], v[236:239]// 000000005548: D3F300EC 1FB259A4
	s_add_u32 s60, 0x100, s80                                  // 000000005550: 803C50FF 00000100
	s_cmp_lt_u32 s60, s81                                      // 000000005558: BF0A513C
	s_cselect_b32 s83, s83, 0                                  // 00000000555C: 85538053
	v_mfma_f32_16x16x32_fp8_fp8 v[236:239], a[166:167], a[46:47], v[236:239]// 000000005560: D3F300EC 1FB25DA6
	s_add_u32 s24, s58, s24                                    // 000000005568: 8018183A
	s_addc_u32 s25, 0, s25                                     // 00000000556C: 82191980
	v_mfma_f32_16x16x32_fp8_fp8 v[248:251], a[168:169], a[40:41], v[248:251]// 000000005570: D3F300F8 1FE251A8
	s_add_u32 s20, s57, s20                                    // 000000005578: 80141439
	s_addc_u32 s21, 0, s21                                     // 00000000557C: 82151580
	v_mfma_f32_16x16x32_fp8_fp8 v[248:251], a[170:171], a[42:43], v[248:251]// 000000005580: D3F300F8 1FE255AA
	s_add_u32 s84, s83, s84                                    // 000000005588: 80545453
	s_addc_u32 s85, 0, s85                                     // 00000000558C: 82555580
	v_mfma_f32_16x16x32_fp8_fp8 v[248:251], a[172:173], a[44:45], v[248:251]// 000000005590: D3F300F8 1FE259AC
	v_mfma_f32_16x16x32_fp8_fp8 v[248:251], a[174:175], a[46:47], v[248:251]// 000000005598: D3F300F8 1FE25DAE
	s_addk_i32 s80, 0x80                                       // 0000000055A0: B7500080
	s_cmp_lt_i32 s80, s81                                      // 0000000055A4: BF045150
	s_cbranch_scc0 label_0EE2                                  // 0000000055A8: BF8403F7
	s_waitcnt vmcnt(22) lgkmcnt(0)                             // 0000000055AC: BF8C4076
	v_mfma_f32_16x16x32_fp8_fp8 v[60:63], a[176:177], a[0:1], v[60:63]// 0000000055B0: D3F3003C 1CF201B0
	v_mfma_f32_16x16x32_fp8_fp8 v[60:63], a[178:179], a[2:3], v[60:63]// 0000000055B8: D3F3003C 1CF205B2
	buffer_load_dwordx4 a[112:115], v49, s[24:27], 0 offen     // 0000000055C0: E05C1000 80867031
	v_mfma_f32_16x16x32_fp8_fp8 v[60:63], a[180:181], a[4:5], v[60:63]// 0000000055C8: D3F3003C 1CF209B4
	v_mfma_f32_16x16x32_fp8_fp8 v[60:63], a[182:183], a[6:7], v[60:63]// 0000000055D0: D3F3003C 1CF20DB6
	v_mfma_f32_16x16x32_fp8_fp8 v[72:75], a[184:185], a[0:1], v[72:75]// 0000000055D8: D3F30048 1D2201B8
	v_mfma_f32_16x16x32_fp8_fp8 v[72:75], a[186:187], a[2:3], v[72:75]// 0000000055E0: D3F30048 1D2205BA
	buffer_load_dwordx4 a[116:119], v49, s[24:27], 0 offen offset:1024// 0000000055E8: E05C1400 80867431
	v_mfma_f32_16x16x32_fp8_fp8 v[72:75], a[188:189], a[4:5], v[72:75]// 0000000055F0: D3F30048 1D2209BC
	v_mfma_f32_16x16x32_fp8_fp8 v[72:75], a[190:191], a[6:7], v[72:75]// 0000000055F8: D3F30048 1D220DBE
	v_mfma_f32_16x16x32_fp8_fp8 v[84:87], a[192:193], a[0:1], v[84:87]// 000000005600: D3F30054 1D5201C0
	v_mfma_f32_16x16x32_fp8_fp8 v[84:87], a[194:195], a[2:3], v[84:87]// 000000005608: D3F30054 1D5205C2
	buffer_load_dwordx4 a[120:123], v50, s[24:27], 0 offen     // 000000005610: E05C1000 80867832
	v_mfma_f32_16x16x32_fp8_fp8 v[84:87], a[196:197], a[4:5], v[84:87]// 000000005618: D3F30054 1D5209C4
	v_mfma_f32_16x16x32_fp8_fp8 v[84:87], a[198:199], a[6:7], v[84:87]// 000000005620: D3F30054 1D520DC6
	v_mfma_f32_16x16x32_fp8_fp8 v[96:99], a[200:201], a[0:1], v[96:99]// 000000005628: D3F30060 1D8201C8
	v_mfma_f32_16x16x32_fp8_fp8 v[96:99], a[202:203], a[2:3], v[96:99]// 000000005630: D3F30060 1D8205CA
	buffer_load_dwordx4 a[124:127], v50, s[24:27], 0 offen offset:1024// 000000005638: E05C1400 80867C32
	v_mfma_f32_16x16x32_fp8_fp8 v[96:99], a[204:205], a[4:5], v[96:99]// 000000005640: D3F30060 1D8209CC
	v_mfma_f32_16x16x32_fp8_fp8 v[96:99], a[206:207], a[6:7], v[96:99]// 000000005648: D3F30060 1D820DCE
	v_mfma_f32_16x16x32_fp8_fp8 v[108:111], a[208:209], a[0:1], v[108:111]// 000000005650: D3F3006C 1DB201D0
	v_mfma_f32_16x16x32_fp8_fp8 v[108:111], a[210:211], a[2:3], v[108:111]// 000000005658: D3F3006C 1DB205D2
	buffer_load_dwordx4 a[128:131], v51, s[24:27], 0 offen     // 000000005660: E05C1000 80868033
	v_mfma_f32_16x16x32_fp8_fp8 v[108:111], a[212:213], a[4:5], v[108:111]// 000000005668: D3F3006C 1DB209D4
	v_mfma_f32_16x16x32_fp8_fp8 v[108:111], a[214:215], a[6:7], v[108:111]// 000000005670: D3F3006C 1DB20DD6
	v_mfma_f32_16x16x32_fp8_fp8 v[120:123], a[216:217], a[0:1], v[120:123]// 000000005678: D3F30078 1DE201D8
	v_mfma_f32_16x16x32_fp8_fp8 v[120:123], a[218:219], a[2:3], v[120:123]// 000000005680: D3F30078 1DE205DA
	buffer_load_dwordx4 a[132:135], v51, s[24:27], 0 offen offset:1024// 000000005688: E05C1400 80868433
	v_mfma_f32_16x16x32_fp8_fp8 v[120:123], a[220:221], a[4:5], v[120:123]// 000000005690: D3F30078 1DE209DC
	v_mfma_f32_16x16x32_fp8_fp8 v[120:123], a[222:223], a[6:7], v[120:123]// 000000005698: D3F30078 1DE20DDE
	v_mfma_f32_16x16x32_fp8_fp8 v[132:135], a[224:225], a[0:1], v[132:135]// 0000000056A0: D3F30084 1E1201E0
	v_mfma_f32_16x16x32_fp8_fp8 v[132:135], a[226:227], a[2:3], v[132:135]// 0000000056A8: D3F30084 1E1205E2
	buffer_load_dwordx4 a[136:139], v52, s[24:27], 0 offen     // 0000000056B0: E05C1000 80868834
	v_mfma_f32_16x16x32_fp8_fp8 v[132:135], a[228:229], a[4:5], v[132:135]// 0000000056B8: D3F30084 1E1209E4
	v_mfma_f32_16x16x32_fp8_fp8 v[132:135], a[230:231], a[6:7], v[132:135]// 0000000056C0: D3F30084 1E120DE6
	v_mfma_f32_16x16x32_fp8_fp8 v[144:147], a[232:233], a[0:1], v[144:147]// 0000000056C8: D3F30090 1E4201E8
	v_mfma_f32_16x16x32_fp8_fp8 v[144:147], a[234:235], a[2:3], v[144:147]// 0000000056D0: D3F30090 1E4205EA
	buffer_load_dwordx4 a[140:143], v52, s[24:27], 0 offen offset:1024// 0000000056D8: E05C1400 80868C34
	v_mfma_f32_16x16x32_fp8_fp8 v[144:147], a[236:237], a[4:5], v[144:147]// 0000000056E0: D3F30090 1E4209EC
	v_mfma_f32_16x16x32_fp8_fp8 v[144:147], a[238:239], a[6:7], v[144:147]// 0000000056E8: D3F30090 1E420DEE
	v_mfma_f32_16x16x32_fp8_fp8 v[64:67], a[176:177], a[8:9], v[64:67]// 0000000056F0: D3F30040 1D0211B0
	v_mfma_f32_16x16x32_fp8_fp8 v[64:67], a[178:179], a[10:11], v[64:67]// 0000000056F8: D3F30040 1D0215B2
	buffer_load_dwordx4 a[144:147], v53, s[24:27], 0 offen     // 000000005700: E05C1000 80869035
	v_mfma_f32_16x16x32_fp8_fp8 v[64:67], a[180:181], a[12:13], v[64:67]// 000000005708: D3F30040 1D0219B4
	v_mfma_f32_16x16x32_fp8_fp8 v[64:67], a[182:183], a[14:15], v[64:67]// 000000005710: D3F30040 1D021DB6
	v_mfma_f32_16x16x32_fp8_fp8 v[76:79], a[184:185], a[8:9], v[76:79]// 000000005718: D3F3004C 1D3211B8
	v_mfma_f32_16x16x32_fp8_fp8 v[76:79], a[186:187], a[10:11], v[76:79]// 000000005720: D3F3004C 1D3215BA
	buffer_load_dwordx4 a[148:151], v53, s[24:27], 0 offen offset:1024// 000000005728: E05C1400 80869435
	v_mfma_f32_16x16x32_fp8_fp8 v[76:79], a[188:189], a[12:13], v[76:79]// 000000005730: D3F3004C 1D3219BC
	v_mfma_f32_16x16x32_fp8_fp8 v[76:79], a[190:191], a[14:15], v[76:79]// 000000005738: D3F3004C 1D321DBE
	v_mfma_f32_16x16x32_fp8_fp8 v[88:91], a[192:193], a[8:9], v[88:91]// 000000005740: D3F30058 1D6211C0
	v_mfma_f32_16x16x32_fp8_fp8 v[88:91], a[194:195], a[10:11], v[88:91]// 000000005748: D3F30058 1D6215C2
	buffer_load_dwordx4 a[152:155], v54, s[24:27], 0 offen     // 000000005750: E05C1000 80869836
	v_mfma_f32_16x16x32_fp8_fp8 v[88:91], a[196:197], a[12:13], v[88:91]// 000000005758: D3F30058 1D6219C4
	v_mfma_f32_16x16x32_fp8_fp8 v[88:91], a[198:199], a[14:15], v[88:91]// 000000005760: D3F30058 1D621DC6
	v_mfma_f32_16x16x32_fp8_fp8 v[100:103], a[200:201], a[8:9], v[100:103]// 000000005768: D3F30064 1D9211C8
	v_mfma_f32_16x16x32_fp8_fp8 v[100:103], a[202:203], a[10:11], v[100:103]// 000000005770: D3F30064 1D9215CA
	buffer_load_dwordx4 a[156:159], v54, s[24:27], 0 offen offset:1024// 000000005778: E05C1400 80869C36
	v_mfma_f32_16x16x32_fp8_fp8 v[100:103], a[204:205], a[12:13], v[100:103]// 000000005780: D3F30064 1D9219CC
	v_mfma_f32_16x16x32_fp8_fp8 v[100:103], a[206:207], a[14:15], v[100:103]// 000000005788: D3F30064 1D921DCE
	v_mfma_f32_16x16x32_fp8_fp8 v[112:115], a[208:209], a[8:9], v[112:115]// 000000005790: D3F30070 1DC211D0
	v_mfma_f32_16x16x32_fp8_fp8 v[112:115], a[210:211], a[10:11], v[112:115]// 000000005798: D3F30070 1DC215D2
	buffer_load_dwordx4 a[160:163], v55, s[24:27], 0 offen     // 0000000057A0: E05C1000 8086A037
	v_mfma_f32_16x16x32_fp8_fp8 v[112:115], a[212:213], a[12:13], v[112:115]// 0000000057A8: D3F30070 1DC219D4
	v_mfma_f32_16x16x32_fp8_fp8 v[112:115], a[214:215], a[14:15], v[112:115]// 0000000057B0: D3F30070 1DC21DD6
	v_mfma_f32_16x16x32_fp8_fp8 v[124:127], a[216:217], a[8:9], v[124:127]// 0000000057B8: D3F3007C 1DF211D8
	v_mfma_f32_16x16x32_fp8_fp8 v[124:127], a[218:219], a[10:11], v[124:127]// 0000000057C0: D3F3007C 1DF215DA
	buffer_load_dwordx4 a[164:167], v55, s[24:27], 0 offen offset:1024// 0000000057C8: E05C1400 8086A437
	v_mfma_f32_16x16x32_fp8_fp8 v[124:127], a[220:221], a[12:13], v[124:127]// 0000000057D0: D3F3007C 1DF219DC
	v_mfma_f32_16x16x32_fp8_fp8 v[124:127], a[222:223], a[14:15], v[124:127]// 0000000057D8: D3F3007C 1DF21DDE
	v_mfma_f32_16x16x32_fp8_fp8 v[136:139], a[224:225], a[8:9], v[136:139]// 0000000057E0: D3F30088 1E2211E0
	v_mfma_f32_16x16x32_fp8_fp8 v[136:139], a[226:227], a[10:11], v[136:139]// 0000000057E8: D3F30088 1E2215E2
	buffer_load_dwordx4 a[168:171], v56, s[24:27], 0 offen     // 0000000057F0: E05C1000 8086A838
	v_mfma_f32_16x16x32_fp8_fp8 v[136:139], a[228:229], a[12:13], v[136:139]// 0000000057F8: D3F30088 1E2219E4
	v_mfma_f32_16x16x32_fp8_fp8 v[136:139], a[230:231], a[14:15], v[136:139]// 000000005800: D3F30088 1E221DE6
	v_mfma_f32_16x16x32_fp8_fp8 v[148:151], a[232:233], a[8:9], v[148:151]// 000000005808: D3F30094 1E5211E8
	v_mfma_f32_16x16x32_fp8_fp8 v[148:151], a[234:235], a[10:11], v[148:151]// 000000005810: D3F30094 1E5215EA
	buffer_load_dwordx4 a[172:175], v56, s[24:27], 0 offen offset:1024// 000000005818: E05C1400 8086AC38
	buffer_load_dword v43, s[20:23], 0 offen lds               // 000000005820: E0511000 8005002B
	s_add_u32 m0, 0x100, s48                                   // 000000005828: 807C30FF 00000100
	v_mfma_f32_16x16x32_fp8_fp8 v[148:151], a[236:237], a[12:13], v[148:151]// 000000005830: D3F30094 1E5219EC
	v_mfma_f32_16x16x32_fp8_fp8 v[148:151], a[238:239], a[14:15], v[148:151]// 000000005838: D3F30094 1E521DEE
	buffer_load_dword v44, s[20:23], 0 offen lds               // 000000005840: E0511000 8005002C
	s_add_u32 m0, 0x200, s48                                   // 000000005848: 807C30FF 00000200
	v_mfma_f32_16x16x32_fp8_fp8 v[68:71], a[176:177], a[16:17], v[68:71]// 000000005850: D3F30044 1D1221B0
	v_mfma_f32_16x16x32_fp8_fp8 v[68:71], a[178:179], a[18:19], v[68:71]// 000000005858: D3F30044 1D1225B2
	buffer_load_dword v45, s[20:23], 0 offen lds               // 000000005860: E0511000 8005002D
	s_add_u32 m0, 0x300, s48                                   // 000000005868: 807C30FF 00000300
	v_mfma_f32_16x16x32_fp8_fp8 v[68:71], a[180:181], a[20:21], v[68:71]// 000000005870: D3F30044 1D1229B4
	v_mfma_f32_16x16x32_fp8_fp8 v[68:71], a[182:183], a[22:23], v[68:71]// 000000005878: D3F30044 1D122DB6
	buffer_load_dword v46, s[20:23], 0 offen lds               // 000000005880: E0511000 8005002E
	s_add_u32 m0, 0x400, s48                                   // 000000005888: 807C30FF 00000400
	v_mfma_f32_16x16x32_fp8_fp8 v[80:83], a[184:185], a[16:17], v[80:83]// 000000005890: D3F30050 1D4221B8
	v_mfma_f32_16x16x32_fp8_fp8 v[80:83], a[186:187], a[18:19], v[80:83]// 000000005898: D3F30050 1D4225BA
	buffer_load_dword v47, s[20:23], 0 offen lds               // 0000000058A0: E0511000 8005002F
	s_add_u32 m0, 0x500, s48                                   // 0000000058A8: 807C30FF 00000500
	v_mfma_f32_16x16x32_fp8_fp8 v[80:83], a[188:189], a[20:21], v[80:83]// 0000000058B0: D3F30050 1D4229BC
	v_mfma_f32_16x16x32_fp8_fp8 v[80:83], a[190:191], a[22:23], v[80:83]// 0000000058B8: D3F30050 1D422DBE
	buffer_load_dword v48, s[20:23], 0 offen lds               // 0000000058C0: E0511000 80050030
	s_add_u32 m0, 0, s49                                       // 0000000058C8: 807C3180
	v_mfma_f32_16x16x32_fp8_fp8 v[92:95], a[192:193], a[16:17], v[92:95]// 0000000058CC: D3F3005C 1D7221C0
	v_mfma_f32_16x16x32_fp8_fp8 v[92:95], a[194:195], a[18:19], v[92:95]// 0000000058D4: D3F3005C 1D7225C2
	v_mfma_f32_16x16x32_fp8_fp8 v[92:95], a[196:197], a[20:21], v[92:95]// 0000000058DC: D3F3005C 1D7229C4
	v_mfma_f32_16x16x32_fp8_fp8 v[92:95], a[198:199], a[22:23], v[92:95]// 0000000058E4: D3F3005C 1D722DC6
	v_mfma_f32_16x16x32_fp8_fp8 v[104:107], a[200:201], a[16:17], v[104:107]// 0000000058EC: D3F30068 1DA221C8
	v_mfma_f32_16x16x32_fp8_fp8 v[104:107], a[202:203], a[18:19], v[104:107]// 0000000058F4: D3F30068 1DA225CA
	v_mfma_f32_16x16x32_fp8_fp8 v[104:107], a[204:205], a[20:21], v[104:107]// 0000000058FC: D3F30068 1DA229CC
	v_mfma_f32_16x16x32_fp8_fp8 v[104:107], a[206:207], a[22:23], v[104:107]// 000000005904: D3F30068 1DA22DCE
	v_mfma_f32_16x16x32_fp8_fp8 v[116:119], a[208:209], a[16:17], v[116:119]// 00000000590C: D3F30074 1DD221D0
	v_mfma_f32_16x16x32_fp8_fp8 v[116:119], a[210:211], a[18:19], v[116:119]// 000000005914: D3F30074 1DD225D2
	v_mfma_f32_16x16x32_fp8_fp8 v[116:119], a[212:213], a[20:21], v[116:119]// 00000000591C: D3F30074 1DD229D4
	v_mfma_f32_16x16x32_fp8_fp8 v[116:119], a[214:215], a[22:23], v[116:119]// 000000005924: D3F30074 1DD22DD6
	v_mfma_f32_16x16x32_fp8_fp8 v[128:131], a[216:217], a[16:17], v[128:131]// 00000000592C: D3F30080 1E0221D8
	v_mfma_f32_16x16x32_fp8_fp8 v[128:131], a[218:219], a[18:19], v[128:131]// 000000005934: D3F30080 1E0225DA
	v_mfma_f32_16x16x32_fp8_fp8 v[128:131], a[220:221], a[20:21], v[128:131]// 00000000593C: D3F30080 1E0229DC
	v_mfma_f32_16x16x32_fp8_fp8 v[128:131], a[222:223], a[22:23], v[128:131]// 000000005944: D3F30080 1E022DDE
	v_mfma_f32_16x16x32_fp8_fp8 v[140:143], a[224:225], a[16:17], v[140:143]// 00000000594C: D3F3008C 1E3221E0
	v_mfma_f32_16x16x32_fp8_fp8 v[140:143], a[226:227], a[18:19], v[140:143]// 000000005954: D3F3008C 1E3225E2
	v_mfma_f32_16x16x32_fp8_fp8 v[140:143], a[228:229], a[20:21], v[140:143]// 00000000595C: D3F3008C 1E3229E4
	v_mfma_f32_16x16x32_fp8_fp8 v[140:143], a[230:231], a[22:23], v[140:143]// 000000005964: D3F3008C 1E322DE6
	v_mfma_f32_16x16x32_fp8_fp8 v[152:155], a[232:233], a[16:17], v[152:155]// 00000000596C: D3F30098 1E6221E8
	v_mfma_f32_16x16x32_fp8_fp8 v[152:155], a[234:235], a[18:19], v[152:155]// 000000005974: D3F30098 1E6225EA
	v_mfma_f32_16x16x32_fp8_fp8 v[152:155], a[236:237], a[20:21], v[152:155]// 00000000597C: D3F30098 1E6229EC
	v_mfma_f32_16x16x32_fp8_fp8 v[152:155], a[238:239], a[22:23], v[152:155]// 000000005984: D3F30098 1E622DEE
	s_waitcnt vmcnt(22)                                        // 00000000598C: BF8C4F76
	s_barrier                                                  // 000000005990: BF8A0000
	v_mfma_f32_16x16x32_fp8_fp8 v[156:159], a[48:49], a[0:1], v[156:159]// 000000005994: D3F3009C 1E720130
	v_mfma_f32_16x16x32_fp8_fp8 v[156:159], a[50:51], a[2:3], v[156:159]// 00000000599C: D3F3009C 1E720532
	buffer_load_dwordx4 a[176:179], v49, s[84:87], 0 offen     // 0000000059A4: E05C1000 8095B031
	v_mfma_f32_16x16x32_fp8_fp8 v[156:159], a[52:53], a[4:5], v[156:159]// 0000000059AC: D3F3009C 1E720934
	v_mfma_f32_16x16x32_fp8_fp8 v[156:159], a[54:55], a[6:7], v[156:159]// 0000000059B4: D3F3009C 1E720D36
	ds_read_b128 a[24:27], v2 offset:12544                     // 0000000059BC: DBFE3100 18000002
	ds_read_b128 a[28:31], v2 offset:12608                     // 0000000059C4: DBFE3140 1C000002
	v_mfma_f32_16x16x32_fp8_fp8 v[168:171], a[56:57], a[0:1], v[168:171]// 0000000059CC: D3F300A8 1EA20138
	v_mfma_f32_16x16x32_fp8_fp8 v[168:171], a[58:59], a[2:3], v[168:171]// 0000000059D4: D3F300A8 1EA2053A
	buffer_load_dwordx4 a[180:183], v49, s[84:87], 0 offen offset:1024// 0000000059DC: E05C1400 8095B431
	v_mfma_f32_16x16x32_fp8_fp8 v[168:171], a[60:61], a[4:5], v[168:171]// 0000000059E4: D3F300A8 1EA2093C
	v_mfma_f32_16x16x32_fp8_fp8 v[168:171], a[62:63], a[6:7], v[168:171]// 0000000059EC: D3F300A8 1EA20D3E
	ds_read_b128 a[32:35], v2 offset:13056                     // 0000000059F4: DBFE3300 20000002
	ds_read_b128 a[36:39], v2 offset:13120                     // 0000000059FC: DBFE3340 24000002
	v_mfma_f32_16x16x32_fp8_fp8 v[180:183], a[64:65], a[0:1], v[180:183]// 000000005A04: D3F300B4 1ED20140
	v_mfma_f32_16x16x32_fp8_fp8 v[180:183], a[66:67], a[2:3], v[180:183]// 000000005A0C: D3F300B4 1ED20542
	buffer_load_dwordx4 a[184:187], v50, s[84:87], 0 offen     // 000000005A14: E05C1000 8095B832
	v_mfma_f32_16x16x32_fp8_fp8 v[180:183], a[68:69], a[4:5], v[180:183]// 000000005A1C: D3F300B4 1ED20944
	v_mfma_f32_16x16x32_fp8_fp8 v[180:183], a[70:71], a[6:7], v[180:183]// 000000005A24: D3F300B4 1ED20D46
	ds_read_b128 a[40:43], v2 offset:13568                     // 000000005A2C: DBFE3500 28000002
	ds_read_b128 a[44:47], v2 offset:13632                     // 000000005A34: DBFE3540 2C000002
	v_mfma_f32_16x16x32_fp8_fp8 v[192:195], a[72:73], a[0:1], v[192:195]// 000000005A3C: D3F300C0 1F020148
	v_mfma_f32_16x16x32_fp8_fp8 v[192:195], a[74:75], a[2:3], v[192:195]// 000000005A44: D3F300C0 1F02054A
	buffer_load_dwordx4 a[188:191], v50, s[84:87], 0 offen offset:1024// 000000005A4C: E05C1400 8095BC32
	v_mfma_f32_16x16x32_fp8_fp8 v[192:195], a[76:77], a[4:5], v[192:195]// 000000005A54: D3F300C0 1F02094C
	v_mfma_f32_16x16x32_fp8_fp8 v[192:195], a[78:79], a[6:7], v[192:195]// 000000005A5C: D3F300C0 1F020D4E
	v_mfma_f32_16x16x32_fp8_fp8 v[204:207], a[80:81], a[0:1], v[204:207]// 000000005A64: D3F300CC 1F320150
	v_mfma_f32_16x16x32_fp8_fp8 v[204:207], a[82:83], a[2:3], v[204:207]// 000000005A6C: D3F300CC 1F320552
	buffer_load_dwordx4 a[192:195], v51, s[84:87], 0 offen     // 000000005A74: E05C1000 8095C033
	v_mfma_f32_16x16x32_fp8_fp8 v[204:207], a[84:85], a[4:5], v[204:207]// 000000005A7C: D3F300CC 1F320954
	v_mfma_f32_16x16x32_fp8_fp8 v[204:207], a[86:87], a[6:7], v[204:207]// 000000005A84: D3F300CC 1F320D56
	v_mfma_f32_16x16x32_fp8_fp8 v[216:219], a[88:89], a[0:1], v[216:219]// 000000005A8C: D3F300D8 1F620158
	v_mfma_f32_16x16x32_fp8_fp8 v[216:219], a[90:91], a[2:3], v[216:219]// 000000005A94: D3F300D8 1F62055A
	buffer_load_dwordx4 a[196:199], v51, s[84:87], 0 offen offset:1024// 000000005A9C: E05C1400 8095C433
	v_mfma_f32_16x16x32_fp8_fp8 v[216:219], a[92:93], a[4:5], v[216:219]// 000000005AA4: D3F300D8 1F62095C
	v_mfma_f32_16x16x32_fp8_fp8 v[216:219], a[94:95], a[6:7], v[216:219]// 000000005AAC: D3F300D8 1F620D5E
	v_mfma_f32_16x16x32_fp8_fp8 v[228:231], a[96:97], a[0:1], v[228:231]// 000000005AB4: D3F300E4 1F920160
	v_mfma_f32_16x16x32_fp8_fp8 v[228:231], a[98:99], a[2:3], v[228:231]// 000000005ABC: D3F300E4 1F920562
	buffer_load_dwordx4 a[200:203], v52, s[84:87], 0 offen     // 000000005AC4: E05C1000 8095C834
	v_mfma_f32_16x16x32_fp8_fp8 v[228:231], a[100:101], a[4:5], v[228:231]// 000000005ACC: D3F300E4 1F920964
	v_mfma_f32_16x16x32_fp8_fp8 v[228:231], a[102:103], a[6:7], v[228:231]// 000000005AD4: D3F300E4 1F920D66
	v_mfma_f32_16x16x32_fp8_fp8 v[240:243], a[104:105], a[0:1], v[240:243]// 000000005ADC: D3F300F0 1FC20168
	v_mfma_f32_16x16x32_fp8_fp8 v[240:243], a[106:107], a[2:3], v[240:243]// 000000005AE4: D3F300F0 1FC2056A
	buffer_load_dwordx4 a[204:207], v52, s[84:87], 0 offen offset:1024// 000000005AEC: E05C1400 8095CC34
	v_mfma_f32_16x16x32_fp8_fp8 v[240:243], a[108:109], a[4:5], v[240:243]// 000000005AF4: D3F300F0 1FC2096C
	v_mfma_f32_16x16x32_fp8_fp8 v[240:243], a[110:111], a[6:7], v[240:243]// 000000005AFC: D3F300F0 1FC20D6E
	v_mfma_f32_16x16x32_fp8_fp8 v[160:163], a[48:49], a[8:9], v[160:163]// 000000005B04: D3F300A0 1E821130
	v_mfma_f32_16x16x32_fp8_fp8 v[160:163], a[50:51], a[10:11], v[160:163]// 000000005B0C: D3F300A0 1E821532
	buffer_load_dwordx4 a[208:211], v53, s[84:87], 0 offen     // 000000005B14: E05C1000 8095D035
	v_mfma_f32_16x16x32_fp8_fp8 v[160:163], a[52:53], a[12:13], v[160:163]// 000000005B1C: D3F300A0 1E821934
	v_mfma_f32_16x16x32_fp8_fp8 v[160:163], a[54:55], a[14:15], v[160:163]// 000000005B24: D3F300A0 1E821D36
	v_mfma_f32_16x16x32_fp8_fp8 v[172:175], a[56:57], a[8:9], v[172:175]// 000000005B2C: D3F300AC 1EB21138
	v_mfma_f32_16x16x32_fp8_fp8 v[172:175], a[58:59], a[10:11], v[172:175]// 000000005B34: D3F300AC 1EB2153A
	buffer_load_dwordx4 a[212:215], v53, s[84:87], 0 offen offset:1024// 000000005B3C: E05C1400 8095D435
	v_mfma_f32_16x16x32_fp8_fp8 v[172:175], a[60:61], a[12:13], v[172:175]// 000000005B44: D3F300AC 1EB2193C
	v_mfma_f32_16x16x32_fp8_fp8 v[172:175], a[62:63], a[14:15], v[172:175]// 000000005B4C: D3F300AC 1EB21D3E
	v_mfma_f32_16x16x32_fp8_fp8 v[184:187], a[64:65], a[8:9], v[184:187]// 000000005B54: D3F300B8 1EE21140
	v_mfma_f32_16x16x32_fp8_fp8 v[184:187], a[66:67], a[10:11], v[184:187]// 000000005B5C: D3F300B8 1EE21542
	buffer_load_dwordx4 a[216:219], v54, s[84:87], 0 offen     // 000000005B64: E05C1000 8095D836
	v_mfma_f32_16x16x32_fp8_fp8 v[184:187], a[68:69], a[12:13], v[184:187]// 000000005B6C: D3F300B8 1EE21944
	v_mfma_f32_16x16x32_fp8_fp8 v[184:187], a[70:71], a[14:15], v[184:187]// 000000005B74: D3F300B8 1EE21D46
	v_mfma_f32_16x16x32_fp8_fp8 v[196:199], a[72:73], a[8:9], v[196:199]// 000000005B7C: D3F300C4 1F121148
	v_mfma_f32_16x16x32_fp8_fp8 v[196:199], a[74:75], a[10:11], v[196:199]// 000000005B84: D3F300C4 1F12154A
	buffer_load_dwordx4 a[220:223], v54, s[84:87], 0 offen offset:1024// 000000005B8C: E05C1400 8095DC36
	v_mfma_f32_16x16x32_fp8_fp8 v[196:199], a[76:77], a[12:13], v[196:199]// 000000005B94: D3F300C4 1F12194C
	v_mfma_f32_16x16x32_fp8_fp8 v[196:199], a[78:79], a[14:15], v[196:199]// 000000005B9C: D3F300C4 1F121D4E
	v_mfma_f32_16x16x32_fp8_fp8 v[208:211], a[80:81], a[8:9], v[208:211]// 000000005BA4: D3F300D0 1F421150
	v_mfma_f32_16x16x32_fp8_fp8 v[208:211], a[82:83], a[10:11], v[208:211]// 000000005BAC: D3F300D0 1F421552
	buffer_load_dwordx4 a[224:227], v55, s[84:87], 0 offen     // 000000005BB4: E05C1000 8095E037
	v_mfma_f32_16x16x32_fp8_fp8 v[208:211], a[84:85], a[12:13], v[208:211]// 000000005BBC: D3F300D0 1F421954
	v_mfma_f32_16x16x32_fp8_fp8 v[208:211], a[86:87], a[14:15], v[208:211]// 000000005BC4: D3F300D0 1F421D56
	v_mfma_f32_16x16x32_fp8_fp8 v[220:223], a[88:89], a[8:9], v[220:223]// 000000005BCC: D3F300DC 1F721158
	v_mfma_f32_16x16x32_fp8_fp8 v[220:223], a[90:91], a[10:11], v[220:223]// 000000005BD4: D3F300DC 1F72155A
	buffer_load_dwordx4 a[228:231], v55, s[84:87], 0 offen offset:1024// 000000005BDC: E05C1400 8095E437
	v_mfma_f32_16x16x32_fp8_fp8 v[220:223], a[92:93], a[12:13], v[220:223]// 000000005BE4: D3F300DC 1F72195C
	v_mfma_f32_16x16x32_fp8_fp8 v[220:223], a[94:95], a[14:15], v[220:223]// 000000005BEC: D3F300DC 1F721D5E
	v_mfma_f32_16x16x32_fp8_fp8 v[232:235], a[96:97], a[8:9], v[232:235]// 000000005BF4: D3F300E8 1FA21160
	v_mfma_f32_16x16x32_fp8_fp8 v[232:235], a[98:99], a[10:11], v[232:235]// 000000005BFC: D3F300E8 1FA21562
	buffer_load_dwordx4 a[232:235], v56, s[84:87], 0 offen     // 000000005C04: E05C1000 8095E838
	v_mfma_f32_16x16x32_fp8_fp8 v[232:235], a[100:101], a[12:13], v[232:235]// 000000005C0C: D3F300E8 1FA21964
	v_mfma_f32_16x16x32_fp8_fp8 v[232:235], a[102:103], a[14:15], v[232:235]// 000000005C14: D3F300E8 1FA21D66
	v_mfma_f32_16x16x32_fp8_fp8 v[244:247], a[104:105], a[8:9], v[244:247]// 000000005C1C: D3F300F4 1FD21168
	v_mfma_f32_16x16x32_fp8_fp8 v[244:247], a[106:107], a[10:11], v[244:247]// 000000005C24: D3F300F4 1FD2156A
	buffer_load_dwordx4 a[236:239], v56, s[84:87], 0 offen offset:1024// 000000005C2C: E05C1400 8095EC38
	v_mfma_f32_16x16x32_fp8_fp8 v[244:247], a[108:109], a[12:13], v[244:247]// 000000005C34: D3F300F4 1FD2196C
	v_mfma_f32_16x16x32_fp8_fp8 v[244:247], a[110:111], a[14:15], v[244:247]// 000000005C3C: D3F300F4 1FD21D6E
	v_mfma_f32_16x16x32_fp8_fp8 v[164:167], a[48:49], a[16:17], v[164:167]// 000000005C44: D3F300A4 1E922130
	v_mfma_f32_16x16x32_fp8_fp8 v[164:167], a[50:51], a[18:19], v[164:167]// 000000005C4C: D3F300A4 1E922532
	v_mfma_f32_16x16x32_fp8_fp8 v[164:167], a[52:53], a[20:21], v[164:167]// 000000005C54: D3F300A4 1E922934
	v_mfma_f32_16x16x32_fp8_fp8 v[164:167], a[54:55], a[22:23], v[164:167]// 000000005C5C: D3F300A4 1E922D36
	v_mfma_f32_16x16x32_fp8_fp8 v[176:179], a[56:57], a[16:17], v[176:179]// 000000005C64: D3F300B0 1EC22138
	v_mfma_f32_16x16x32_fp8_fp8 v[176:179], a[58:59], a[18:19], v[176:179]// 000000005C6C: D3F300B0 1EC2253A
	v_mfma_f32_16x16x32_fp8_fp8 v[176:179], a[60:61], a[20:21], v[176:179]// 000000005C74: D3F300B0 1EC2293C
	v_mfma_f32_16x16x32_fp8_fp8 v[176:179], a[62:63], a[22:23], v[176:179]// 000000005C7C: D3F300B0 1EC22D3E
	v_mfma_f32_16x16x32_fp8_fp8 v[188:191], a[64:65], a[16:17], v[188:191]// 000000005C84: D3F300BC 1EF22140
	v_mfma_f32_16x16x32_fp8_fp8 v[188:191], a[66:67], a[18:19], v[188:191]// 000000005C8C: D3F300BC 1EF22542
	v_mfma_f32_16x16x32_fp8_fp8 v[188:191], a[68:69], a[20:21], v[188:191]// 000000005C94: D3F300BC 1EF22944
	v_mfma_f32_16x16x32_fp8_fp8 v[188:191], a[70:71], a[22:23], v[188:191]// 000000005C9C: D3F300BC 1EF22D46
	v_mfma_f32_16x16x32_fp8_fp8 v[200:203], a[72:73], a[16:17], v[200:203]// 000000005CA4: D3F300C8 1F222148
	v_mfma_f32_16x16x32_fp8_fp8 v[200:203], a[74:75], a[18:19], v[200:203]// 000000005CAC: D3F300C8 1F22254A
	v_mfma_f32_16x16x32_fp8_fp8 v[200:203], a[76:77], a[20:21], v[200:203]// 000000005CB4: D3F300C8 1F22294C
	v_mfma_f32_16x16x32_fp8_fp8 v[200:203], a[78:79], a[22:23], v[200:203]// 000000005CBC: D3F300C8 1F222D4E
	v_mfma_f32_16x16x32_fp8_fp8 v[212:215], a[80:81], a[16:17], v[212:215]// 000000005CC4: D3F300D4 1F522150
	v_mfma_f32_16x16x32_fp8_fp8 v[212:215], a[82:83], a[18:19], v[212:215]// 000000005CCC: D3F300D4 1F522552
	v_mfma_f32_16x16x32_fp8_fp8 v[212:215], a[84:85], a[20:21], v[212:215]// 000000005CD4: D3F300D4 1F522954
	v_mfma_f32_16x16x32_fp8_fp8 v[212:215], a[86:87], a[22:23], v[212:215]// 000000005CDC: D3F300D4 1F522D56
	v_mfma_f32_16x16x32_fp8_fp8 v[224:227], a[88:89], a[16:17], v[224:227]// 000000005CE4: D3F300E0 1F822158
	v_mfma_f32_16x16x32_fp8_fp8 v[224:227], a[90:91], a[18:19], v[224:227]// 000000005CEC: D3F300E0 1F82255A
	v_mfma_f32_16x16x32_fp8_fp8 v[224:227], a[92:93], a[20:21], v[224:227]// 000000005CF4: D3F300E0 1F82295C
	v_mfma_f32_16x16x32_fp8_fp8 v[224:227], a[94:95], a[22:23], v[224:227]// 000000005CFC: D3F300E0 1F822D5E
	v_mfma_f32_16x16x32_fp8_fp8 v[236:239], a[96:97], a[16:17], v[236:239]// 000000005D04: D3F300EC 1FB22160
	s_add_u32 s60, 0x180, s80                                  // 000000005D0C: 803C50FF 00000180
	s_cmp_lt_u32 s60, s81                                      // 000000005D14: BF0A513C
	s_cselect_b32 s57, s57, 0                                  // 000000005D18: 85398039
	v_mfma_f32_16x16x32_fp8_fp8 v[236:239], a[98:99], a[18:19], v[236:239]// 000000005D1C: D3F300EC 1FB22562
	s_add_u32 s60, 0x100, s80                                  // 000000005D24: 803C50FF 00000100
	s_cmp_lt_u32 s60, s81                                      // 000000005D2C: BF0A513C
	s_cselect_b32 s58, s58, 0                                  // 000000005D30: 853A803A
	v_mfma_f32_16x16x32_fp8_fp8 v[236:239], a[100:101], a[20:21], v[236:239]// 000000005D34: D3F300EC 1FB22964
	s_add_u32 s60, 0x100, s80                                  // 000000005D3C: 803C50FF 00000100
	s_cmp_lt_u32 s60, s81                                      // 000000005D44: BF0A513C
	s_cselect_b32 s83, s83, 0                                  // 000000005D48: 85538053
	v_mfma_f32_16x16x32_fp8_fp8 v[236:239], a[102:103], a[22:23], v[236:239]// 000000005D4C: D3F300EC 1FB22D66
	s_add_u32 s24, s58, s24                                    // 000000005D54: 8018183A
	s_addc_u32 s25, 0, s25                                     // 000000005D58: 82191980
	v_mfma_f32_16x16x32_fp8_fp8 v[248:251], a[104:105], a[16:17], v[248:251]// 000000005D5C: D3F300F8 1FE22168
	s_add_u32 s20, s57, s20                                    // 000000005D64: 80141439
	s_addc_u32 s21, 0, s21                                     // 000000005D68: 82151580
	v_mfma_f32_16x16x32_fp8_fp8 v[248:251], a[106:107], a[18:19], v[248:251]// 000000005D6C: D3F300F8 1FE2256A
	s_add_u32 s84, s83, s84                                    // 000000005D74: 80545453
	s_addc_u32 s85, 0, s85                                     // 000000005D78: 82555580
	v_mfma_f32_16x16x32_fp8_fp8 v[248:251], a[108:109], a[20:21], v[248:251]// 000000005D7C: D3F300F8 1FE2296C
	v_mfma_f32_16x16x32_fp8_fp8 v[248:251], a[110:111], a[22:23], v[248:251]// 000000005D84: D3F300F8 1FE22D6E
	s_addk_i32 s80, 0x80                                       // 000000005D8C: B7500080
	s_cmp_lt_i32 s80, s81                                      // 000000005D90: BF045150
	s_cbranch_scc0 label_0EE2                                  // 000000005D94: BF8401FC
	s_waitcnt vmcnt(22) lgkmcnt(0)                             // 000000005D98: BF8C4076
	v_mfma_f32_16x16x32_fp8_fp8 v[60:63], a[112:113], a[24:25], v[60:63]// 000000005D9C: D3F3003C 1CF23170
	v_mfma_f32_16x16x32_fp8_fp8 v[60:63], a[114:115], a[26:27], v[60:63]// 000000005DA4: D3F3003C 1CF23572
	buffer_load_dwordx4 a[48:51], v49, s[24:27], 0 offen       // 000000005DAC: E05C1000 80863031
	v_mfma_f32_16x16x32_fp8_fp8 v[60:63], a[116:117], a[28:29], v[60:63]// 000000005DB4: D3F3003C 1CF23974
	v_mfma_f32_16x16x32_fp8_fp8 v[60:63], a[118:119], a[30:31], v[60:63]// 000000005DBC: D3F3003C 1CF23D76
	v_mfma_f32_16x16x32_fp8_fp8 v[72:75], a[120:121], a[24:25], v[72:75]// 000000005DC4: D3F30048 1D223178
	v_mfma_f32_16x16x32_fp8_fp8 v[72:75], a[122:123], a[26:27], v[72:75]// 000000005DCC: D3F30048 1D22357A
	buffer_load_dwordx4 a[52:55], v49, s[24:27], 0 offen offset:1024// 000000005DD4: E05C1400 80863431
	v_mfma_f32_16x16x32_fp8_fp8 v[72:75], a[124:125], a[28:29], v[72:75]// 000000005DDC: D3F30048 1D22397C
	v_mfma_f32_16x16x32_fp8_fp8 v[72:75], a[126:127], a[30:31], v[72:75]// 000000005DE4: D3F30048 1D223D7E
	v_mfma_f32_16x16x32_fp8_fp8 v[84:87], a[128:129], a[24:25], v[84:87]// 000000005DEC: D3F30054 1D523180
	v_mfma_f32_16x16x32_fp8_fp8 v[84:87], a[130:131], a[26:27], v[84:87]// 000000005DF4: D3F30054 1D523582
	buffer_load_dwordx4 a[56:59], v50, s[24:27], 0 offen       // 000000005DFC: E05C1000 80863832
	v_mfma_f32_16x16x32_fp8_fp8 v[84:87], a[132:133], a[28:29], v[84:87]// 000000005E04: D3F30054 1D523984
	v_mfma_f32_16x16x32_fp8_fp8 v[84:87], a[134:135], a[30:31], v[84:87]// 000000005E0C: D3F30054 1D523D86
	v_mfma_f32_16x16x32_fp8_fp8 v[96:99], a[136:137], a[24:25], v[96:99]// 000000005E14: D3F30060 1D823188
	v_mfma_f32_16x16x32_fp8_fp8 v[96:99], a[138:139], a[26:27], v[96:99]// 000000005E1C: D3F30060 1D82358A
	buffer_load_dwordx4 a[60:63], v50, s[24:27], 0 offen offset:1024// 000000005E24: E05C1400 80863C32
	v_mfma_f32_16x16x32_fp8_fp8 v[96:99], a[140:141], a[28:29], v[96:99]// 000000005E2C: D3F30060 1D82398C
	v_mfma_f32_16x16x32_fp8_fp8 v[96:99], a[142:143], a[30:31], v[96:99]// 000000005E34: D3F30060 1D823D8E
	v_mfma_f32_16x16x32_fp8_fp8 v[108:111], a[144:145], a[24:25], v[108:111]// 000000005E3C: D3F3006C 1DB23190
	v_mfma_f32_16x16x32_fp8_fp8 v[108:111], a[146:147], a[26:27], v[108:111]// 000000005E44: D3F3006C 1DB23592
	buffer_load_dwordx4 a[64:67], v51, s[24:27], 0 offen       // 000000005E4C: E05C1000 80864033
	v_mfma_f32_16x16x32_fp8_fp8 v[108:111], a[148:149], a[28:29], v[108:111]// 000000005E54: D3F3006C 1DB23994
	v_mfma_f32_16x16x32_fp8_fp8 v[108:111], a[150:151], a[30:31], v[108:111]// 000000005E5C: D3F3006C 1DB23D96
	v_mfma_f32_16x16x32_fp8_fp8 v[120:123], a[152:153], a[24:25], v[120:123]// 000000005E64: D3F30078 1DE23198
	v_mfma_f32_16x16x32_fp8_fp8 v[120:123], a[154:155], a[26:27], v[120:123]// 000000005E6C: D3F30078 1DE2359A
	buffer_load_dwordx4 a[68:71], v51, s[24:27], 0 offen offset:1024// 000000005E74: E05C1400 80864433
	v_mfma_f32_16x16x32_fp8_fp8 v[120:123], a[156:157], a[28:29], v[120:123]// 000000005E7C: D3F30078 1DE2399C
	v_mfma_f32_16x16x32_fp8_fp8 v[120:123], a[158:159], a[30:31], v[120:123]// 000000005E84: D3F30078 1DE23D9E
	v_mfma_f32_16x16x32_fp8_fp8 v[132:135], a[160:161], a[24:25], v[132:135]// 000000005E8C: D3F30084 1E1231A0
	v_mfma_f32_16x16x32_fp8_fp8 v[132:135], a[162:163], a[26:27], v[132:135]// 000000005E94: D3F30084 1E1235A2
	buffer_load_dwordx4 a[72:75], v52, s[24:27], 0 offen       // 000000005E9C: E05C1000 80864834
	v_mfma_f32_16x16x32_fp8_fp8 v[132:135], a[164:165], a[28:29], v[132:135]// 000000005EA4: D3F30084 1E1239A4
	v_mfma_f32_16x16x32_fp8_fp8 v[132:135], a[166:167], a[30:31], v[132:135]// 000000005EAC: D3F30084 1E123DA6
	v_mfma_f32_16x16x32_fp8_fp8 v[144:147], a[168:169], a[24:25], v[144:147]// 000000005EB4: D3F30090 1E4231A8
	v_mfma_f32_16x16x32_fp8_fp8 v[144:147], a[170:171], a[26:27], v[144:147]// 000000005EBC: D3F30090 1E4235AA
	buffer_load_dwordx4 a[76:79], v52, s[24:27], 0 offen offset:1024// 000000005EC4: E05C1400 80864C34
	v_mfma_f32_16x16x32_fp8_fp8 v[144:147], a[172:173], a[28:29], v[144:147]// 000000005ECC: D3F30090 1E4239AC
	v_mfma_f32_16x16x32_fp8_fp8 v[144:147], a[174:175], a[30:31], v[144:147]// 000000005ED4: D3F30090 1E423DAE
	v_mfma_f32_16x16x32_fp8_fp8 v[64:67], a[112:113], a[32:33], v[64:67]// 000000005EDC: D3F30040 1D024170
	v_mfma_f32_16x16x32_fp8_fp8 v[64:67], a[114:115], a[34:35], v[64:67]// 000000005EE4: D3F30040 1D024572
	buffer_load_dwordx4 a[80:83], v53, s[24:27], 0 offen       // 000000005EEC: E05C1000 80865035
	v_mfma_f32_16x16x32_fp8_fp8 v[64:67], a[116:117], a[36:37], v[64:67]// 000000005EF4: D3F30040 1D024974
	v_mfma_f32_16x16x32_fp8_fp8 v[64:67], a[118:119], a[38:39], v[64:67]// 000000005EFC: D3F30040 1D024D76
	v_mfma_f32_16x16x32_fp8_fp8 v[76:79], a[120:121], a[32:33], v[76:79]// 000000005F04: D3F3004C 1D324178
	v_mfma_f32_16x16x32_fp8_fp8 v[76:79], a[122:123], a[34:35], v[76:79]// 000000005F0C: D3F3004C 1D32457A
	buffer_load_dwordx4 a[84:87], v53, s[24:27], 0 offen offset:1024// 000000005F14: E05C1400 80865435
	v_mfma_f32_16x16x32_fp8_fp8 v[76:79], a[124:125], a[36:37], v[76:79]// 000000005F1C: D3F3004C 1D32497C
	v_mfma_f32_16x16x32_fp8_fp8 v[76:79], a[126:127], a[38:39], v[76:79]// 000000005F24: D3F3004C 1D324D7E
	v_mfma_f32_16x16x32_fp8_fp8 v[88:91], a[128:129], a[32:33], v[88:91]// 000000005F2C: D3F30058 1D624180
	v_mfma_f32_16x16x32_fp8_fp8 v[88:91], a[130:131], a[34:35], v[88:91]// 000000005F34: D3F30058 1D624582
	buffer_load_dwordx4 a[88:91], v54, s[24:27], 0 offen       // 000000005F3C: E05C1000 80865836
	v_mfma_f32_16x16x32_fp8_fp8 v[88:91], a[132:133], a[36:37], v[88:91]// 000000005F44: D3F30058 1D624984
	v_mfma_f32_16x16x32_fp8_fp8 v[88:91], a[134:135], a[38:39], v[88:91]// 000000005F4C: D3F30058 1D624D86
	v_mfma_f32_16x16x32_fp8_fp8 v[100:103], a[136:137], a[32:33], v[100:103]// 000000005F54: D3F30064 1D924188
	v_mfma_f32_16x16x32_fp8_fp8 v[100:103], a[138:139], a[34:35], v[100:103]// 000000005F5C: D3F30064 1D92458A
	buffer_load_dwordx4 a[92:95], v54, s[24:27], 0 offen offset:1024// 000000005F64: E05C1400 80865C36
	v_mfma_f32_16x16x32_fp8_fp8 v[100:103], a[140:141], a[36:37], v[100:103]// 000000005F6C: D3F30064 1D92498C
	v_mfma_f32_16x16x32_fp8_fp8 v[100:103], a[142:143], a[38:39], v[100:103]// 000000005F74: D3F30064 1D924D8E
	v_mfma_f32_16x16x32_fp8_fp8 v[112:115], a[144:145], a[32:33], v[112:115]// 000000005F7C: D3F30070 1DC24190
	v_mfma_f32_16x16x32_fp8_fp8 v[112:115], a[146:147], a[34:35], v[112:115]// 000000005F84: D3F30070 1DC24592
	buffer_load_dwordx4 a[96:99], v55, s[24:27], 0 offen       // 000000005F8C: E05C1000 80866037
	v_mfma_f32_16x16x32_fp8_fp8 v[112:115], a[148:149], a[36:37], v[112:115]// 000000005F94: D3F30070 1DC24994
	v_mfma_f32_16x16x32_fp8_fp8 v[112:115], a[150:151], a[38:39], v[112:115]// 000000005F9C: D3F30070 1DC24D96
	v_mfma_f32_16x16x32_fp8_fp8 v[124:127], a[152:153], a[32:33], v[124:127]// 000000005FA4: D3F3007C 1DF24198
	v_mfma_f32_16x16x32_fp8_fp8 v[124:127], a[154:155], a[34:35], v[124:127]// 000000005FAC: D3F3007C 1DF2459A
	buffer_load_dwordx4 a[100:103], v55, s[24:27], 0 offen offset:1024// 000000005FB4: E05C1400 80866437
	v_mfma_f32_16x16x32_fp8_fp8 v[124:127], a[156:157], a[36:37], v[124:127]// 000000005FBC: D3F3007C 1DF2499C
	v_mfma_f32_16x16x32_fp8_fp8 v[124:127], a[158:159], a[38:39], v[124:127]// 000000005FC4: D3F3007C 1DF24D9E
	v_mfma_f32_16x16x32_fp8_fp8 v[136:139], a[160:161], a[32:33], v[136:139]// 000000005FCC: D3F30088 1E2241A0
	v_mfma_f32_16x16x32_fp8_fp8 v[136:139], a[162:163], a[34:35], v[136:139]// 000000005FD4: D3F30088 1E2245A2
	buffer_load_dwordx4 a[104:107], v56, s[24:27], 0 offen     // 000000005FDC: E05C1000 80866838
	v_mfma_f32_16x16x32_fp8_fp8 v[136:139], a[164:165], a[36:37], v[136:139]// 000000005FE4: D3F30088 1E2249A4
	v_mfma_f32_16x16x32_fp8_fp8 v[136:139], a[166:167], a[38:39], v[136:139]// 000000005FEC: D3F30088 1E224DA6
	v_mfma_f32_16x16x32_fp8_fp8 v[148:151], a[168:169], a[32:33], v[148:151]// 000000005FF4: D3F30094 1E5241A8
	v_mfma_f32_16x16x32_fp8_fp8 v[148:151], a[170:171], a[34:35], v[148:151]// 000000005FFC: D3F30094 1E5245AA
	buffer_load_dwordx4 a[108:111], v56, s[24:27], 0 offen offset:1024// 000000006004: E05C1400 80866C38
	buffer_load_dword v43, s[20:23], 0 offen lds               // 00000000600C: E0511000 8005002B
	s_add_u32 m0, 0x100, s49                                   // 000000006014: 807C31FF 00000100
	v_mfma_f32_16x16x32_fp8_fp8 v[148:151], a[172:173], a[36:37], v[148:151]// 00000000601C: D3F30094 1E5249AC
	v_mfma_f32_16x16x32_fp8_fp8 v[148:151], a[174:175], a[38:39], v[148:151]// 000000006024: D3F30094 1E524DAE
	buffer_load_dword v44, s[20:23], 0 offen lds               // 00000000602C: E0511000 8005002C
	s_add_u32 m0, 0x200, s49                                   // 000000006034: 807C31FF 00000200
	v_mfma_f32_16x16x32_fp8_fp8 v[68:71], a[112:113], a[40:41], v[68:71]// 00000000603C: D3F30044 1D125170
	v_mfma_f32_16x16x32_fp8_fp8 v[68:71], a[114:115], a[42:43], v[68:71]// 000000006044: D3F30044 1D125572
	buffer_load_dword v45, s[20:23], 0 offen lds               // 00000000604C: E0511000 8005002D
	s_add_u32 m0, 0x300, s49                                   // 000000006054: 807C31FF 00000300
	v_mfma_f32_16x16x32_fp8_fp8 v[68:71], a[116:117], a[44:45], v[68:71]// 00000000605C: D3F30044 1D125974
	v_mfma_f32_16x16x32_fp8_fp8 v[68:71], a[118:119], a[46:47], v[68:71]// 000000006064: D3F30044 1D125D76
	buffer_load_dword v46, s[20:23], 0 offen lds               // 00000000606C: E0511000 8005002E
	s_add_u32 m0, 0x400, s49                                   // 000000006074: 807C31FF 00000400
	v_mfma_f32_16x16x32_fp8_fp8 v[80:83], a[120:121], a[40:41], v[80:83]// 00000000607C: D3F30050 1D425178
	v_mfma_f32_16x16x32_fp8_fp8 v[80:83], a[122:123], a[42:43], v[80:83]// 000000006084: D3F30050 1D42557A
	buffer_load_dword v47, s[20:23], 0 offen lds               // 00000000608C: E0511000 8005002F
	s_add_u32 m0, 0x500, s49                                   // 000000006094: 807C31FF 00000500
	v_mfma_f32_16x16x32_fp8_fp8 v[80:83], a[124:125], a[44:45], v[80:83]// 00000000609C: D3F30050 1D42597C
	v_mfma_f32_16x16x32_fp8_fp8 v[80:83], a[126:127], a[46:47], v[80:83]// 0000000060A4: D3F30050 1D425D7E
	buffer_load_dword v48, s[20:23], 0 offen lds               // 0000000060AC: E0511000 80050030
	s_add_u32 m0, 0, s50                                       // 0000000060B4: 807C3280
	v_mfma_f32_16x16x32_fp8_fp8 v[92:95], a[128:129], a[40:41], v[92:95]// 0000000060B8: D3F3005C 1D725180
	v_mfma_f32_16x16x32_fp8_fp8 v[92:95], a[130:131], a[42:43], v[92:95]// 0000000060C0: D3F3005C 1D725582
	v_mfma_f32_16x16x32_fp8_fp8 v[92:95], a[132:133], a[44:45], v[92:95]// 0000000060C8: D3F3005C 1D725984
	v_mfma_f32_16x16x32_fp8_fp8 v[92:95], a[134:135], a[46:47], v[92:95]// 0000000060D0: D3F3005C 1D725D86
	v_mfma_f32_16x16x32_fp8_fp8 v[104:107], a[136:137], a[40:41], v[104:107]// 0000000060D8: D3F30068 1DA25188
	v_mfma_f32_16x16x32_fp8_fp8 v[104:107], a[138:139], a[42:43], v[104:107]// 0000000060E0: D3F30068 1DA2558A
	v_mfma_f32_16x16x32_fp8_fp8 v[104:107], a[140:141], a[44:45], v[104:107]// 0000000060E8: D3F30068 1DA2598C
	v_mfma_f32_16x16x32_fp8_fp8 v[104:107], a[142:143], a[46:47], v[104:107]// 0000000060F0: D3F30068 1DA25D8E
	v_mfma_f32_16x16x32_fp8_fp8 v[116:119], a[144:145], a[40:41], v[116:119]// 0000000060F8: D3F30074 1DD25190
	v_mfma_f32_16x16x32_fp8_fp8 v[116:119], a[146:147], a[42:43], v[116:119]// 000000006100: D3F30074 1DD25592
	v_mfma_f32_16x16x32_fp8_fp8 v[116:119], a[148:149], a[44:45], v[116:119]// 000000006108: D3F30074 1DD25994
	v_mfma_f32_16x16x32_fp8_fp8 v[116:119], a[150:151], a[46:47], v[116:119]// 000000006110: D3F30074 1DD25D96
	v_mfma_f32_16x16x32_fp8_fp8 v[128:131], a[152:153], a[40:41], v[128:131]// 000000006118: D3F30080 1E025198
	v_mfma_f32_16x16x32_fp8_fp8 v[128:131], a[154:155], a[42:43], v[128:131]// 000000006120: D3F30080 1E02559A
	v_mfma_f32_16x16x32_fp8_fp8 v[128:131], a[156:157], a[44:45], v[128:131]// 000000006128: D3F30080 1E02599C
	v_mfma_f32_16x16x32_fp8_fp8 v[128:131], a[158:159], a[46:47], v[128:131]// 000000006130: D3F30080 1E025D9E
	v_mfma_f32_16x16x32_fp8_fp8 v[140:143], a[160:161], a[40:41], v[140:143]// 000000006138: D3F3008C 1E3251A0
	v_mfma_f32_16x16x32_fp8_fp8 v[140:143], a[162:163], a[42:43], v[140:143]// 000000006140: D3F3008C 1E3255A2
	v_mfma_f32_16x16x32_fp8_fp8 v[140:143], a[164:165], a[44:45], v[140:143]// 000000006148: D3F3008C 1E3259A4
	v_mfma_f32_16x16x32_fp8_fp8 v[140:143], a[166:167], a[46:47], v[140:143]// 000000006150: D3F3008C 1E325DA6
	v_mfma_f32_16x16x32_fp8_fp8 v[152:155], a[168:169], a[40:41], v[152:155]// 000000006158: D3F30098 1E6251A8
	v_mfma_f32_16x16x32_fp8_fp8 v[152:155], a[170:171], a[42:43], v[152:155]// 000000006160: D3F30098 1E6255AA
	v_mfma_f32_16x16x32_fp8_fp8 v[152:155], a[172:173], a[44:45], v[152:155]// 000000006168: D3F30098 1E6259AC
	v_mfma_f32_16x16x32_fp8_fp8 v[152:155], a[174:175], a[46:47], v[152:155]// 000000006170: D3F30098 1E625DAE
	s_waitcnt vmcnt(22)                                        // 000000006178: BF8C4F76
	s_barrier                                                  // 00000000617C: BF8A0000
	v_mfma_f32_16x16x32_fp8_fp8 v[156:159], a[176:177], a[24:25], v[156:159]// 000000006180: D3F3009C 1E7231B0
	v_mfma_f32_16x16x32_fp8_fp8 v[156:159], a[178:179], a[26:27], v[156:159]// 000000006188: D3F3009C 1E7235B2
	buffer_load_dwordx4 a[112:115], v49, s[84:87], 0 offen     // 000000006190: E05C1000 80957031
	v_mfma_f32_16x16x32_fp8_fp8 v[156:159], a[180:181], a[28:29], v[156:159]// 000000006198: D3F3009C 1E7239B4
	v_mfma_f32_16x16x32_fp8_fp8 v[156:159], a[182:183], a[30:31], v[156:159]// 0000000061A0: D3F3009C 1E723DB6
	ds_read_b128 a[0:3], v2                                    // 0000000061A8: DBFE0000 00000002
	ds_read_b128 a[4:7], v2 offset:64                          // 0000000061B0: DBFE0040 04000002
	v_mfma_f32_16x16x32_fp8_fp8 v[168:171], a[184:185], a[24:25], v[168:171]// 0000000061B8: D3F300A8 1EA231B8
	v_mfma_f32_16x16x32_fp8_fp8 v[168:171], a[186:187], a[26:27], v[168:171]// 0000000061C0: D3F300A8 1EA235BA
	buffer_load_dwordx4 a[116:119], v49, s[84:87], 0 offen offset:1024// 0000000061C8: E05C1400 80957431
	v_mfma_f32_16x16x32_fp8_fp8 v[168:171], a[188:189], a[28:29], v[168:171]// 0000000061D0: D3F300A8 1EA239BC
	v_mfma_f32_16x16x32_fp8_fp8 v[168:171], a[190:191], a[30:31], v[168:171]// 0000000061D8: D3F300A8 1EA23DBE
	ds_read_b128 a[8:11], v2 offset:512                        // 0000000061E0: DBFE0200 08000002
	ds_read_b128 a[12:15], v2 offset:576                       // 0000000061E8: DBFE0240 0C000002
	v_mfma_f32_16x16x32_fp8_fp8 v[180:183], a[192:193], a[24:25], v[180:183]// 0000000061F0: D3F300B4 1ED231C0
	v_mfma_f32_16x16x32_fp8_fp8 v[180:183], a[194:195], a[26:27], v[180:183]// 0000000061F8: D3F300B4 1ED235C2
	buffer_load_dwordx4 a[120:123], v50, s[84:87], 0 offen     // 000000006200: E05C1000 80957832
	v_mfma_f32_16x16x32_fp8_fp8 v[180:183], a[196:197], a[28:29], v[180:183]// 000000006208: D3F300B4 1ED239C4
	v_mfma_f32_16x16x32_fp8_fp8 v[180:183], a[198:199], a[30:31], v[180:183]// 000000006210: D3F300B4 1ED23DC6
	ds_read_b128 a[16:19], v2 offset:1024                      // 000000006218: DBFE0400 10000002
	ds_read_b128 a[20:23], v2 offset:1088                      // 000000006220: DBFE0440 14000002
	v_mfma_f32_16x16x32_fp8_fp8 v[192:195], a[200:201], a[24:25], v[192:195]// 000000006228: D3F300C0 1F0231C8
	v_mfma_f32_16x16x32_fp8_fp8 v[192:195], a[202:203], a[26:27], v[192:195]// 000000006230: D3F300C0 1F0235CA
	buffer_load_dwordx4 a[124:127], v50, s[84:87], 0 offen offset:1024// 000000006238: E05C1400 80957C32
	v_mfma_f32_16x16x32_fp8_fp8 v[192:195], a[204:205], a[28:29], v[192:195]// 000000006240: D3F300C0 1F0239CC
	v_mfma_f32_16x16x32_fp8_fp8 v[192:195], a[206:207], a[30:31], v[192:195]// 000000006248: D3F300C0 1F023DCE
	v_mfma_f32_16x16x32_fp8_fp8 v[204:207], a[208:209], a[24:25], v[204:207]// 000000006250: D3F300CC 1F3231D0
	v_mfma_f32_16x16x32_fp8_fp8 v[204:207], a[210:211], a[26:27], v[204:207]// 000000006258: D3F300CC 1F3235D2
	buffer_load_dwordx4 a[128:131], v51, s[84:87], 0 offen     // 000000006260: E05C1000 80958033
	v_mfma_f32_16x16x32_fp8_fp8 v[204:207], a[212:213], a[28:29], v[204:207]// 000000006268: D3F300CC 1F3239D4
	v_mfma_f32_16x16x32_fp8_fp8 v[204:207], a[214:215], a[30:31], v[204:207]// 000000006270: D3F300CC 1F323DD6
	v_mfma_f32_16x16x32_fp8_fp8 v[216:219], a[216:217], a[24:25], v[216:219]// 000000006278: D3F300D8 1F6231D8
	v_mfma_f32_16x16x32_fp8_fp8 v[216:219], a[218:219], a[26:27], v[216:219]// 000000006280: D3F300D8 1F6235DA
	buffer_load_dwordx4 a[132:135], v51, s[84:87], 0 offen offset:1024// 000000006288: E05C1400 80958433
	v_mfma_f32_16x16x32_fp8_fp8 v[216:219], a[220:221], a[28:29], v[216:219]// 000000006290: D3F300D8 1F6239DC
	v_mfma_f32_16x16x32_fp8_fp8 v[216:219], a[222:223], a[30:31], v[216:219]// 000000006298: D3F300D8 1F623DDE
	v_mfma_f32_16x16x32_fp8_fp8 v[228:231], a[224:225], a[24:25], v[228:231]// 0000000062A0: D3F300E4 1F9231E0
	v_mfma_f32_16x16x32_fp8_fp8 v[228:231], a[226:227], a[26:27], v[228:231]// 0000000062A8: D3F300E4 1F9235E2
	buffer_load_dwordx4 a[136:139], v52, s[84:87], 0 offen     // 0000000062B0: E05C1000 80958834
	v_mfma_f32_16x16x32_fp8_fp8 v[228:231], a[228:229], a[28:29], v[228:231]// 0000000062B8: D3F300E4 1F9239E4
	v_mfma_f32_16x16x32_fp8_fp8 v[228:231], a[230:231], a[30:31], v[228:231]// 0000000062C0: D3F300E4 1F923DE6
	v_mfma_f32_16x16x32_fp8_fp8 v[240:243], a[232:233], a[24:25], v[240:243]// 0000000062C8: D3F300F0 1FC231E8
	v_mfma_f32_16x16x32_fp8_fp8 v[240:243], a[234:235], a[26:27], v[240:243]// 0000000062D0: D3F300F0 1FC235EA
	buffer_load_dwordx4 a[140:143], v52, s[84:87], 0 offen offset:1024// 0000000062D8: E05C1400 80958C34
	v_mfma_f32_16x16x32_fp8_fp8 v[240:243], a[236:237], a[28:29], v[240:243]// 0000000062E0: D3F300F0 1FC239EC
	v_mfma_f32_16x16x32_fp8_fp8 v[240:243], a[238:239], a[30:31], v[240:243]// 0000000062E8: D3F300F0 1FC23DEE
	v_mfma_f32_16x16x32_fp8_fp8 v[160:163], a[176:177], a[32:33], v[160:163]// 0000000062F0: D3F300A0 1E8241B0
	v_mfma_f32_16x16x32_fp8_fp8 v[160:163], a[178:179], a[34:35], v[160:163]// 0000000062F8: D3F300A0 1E8245B2
	buffer_load_dwordx4 a[144:147], v53, s[84:87], 0 offen     // 000000006300: E05C1000 80959035
	v_mfma_f32_16x16x32_fp8_fp8 v[160:163], a[180:181], a[36:37], v[160:163]// 000000006308: D3F300A0 1E8249B4
	v_mfma_f32_16x16x32_fp8_fp8 v[160:163], a[182:183], a[38:39], v[160:163]// 000000006310: D3F300A0 1E824DB6
	v_mfma_f32_16x16x32_fp8_fp8 v[172:175], a[184:185], a[32:33], v[172:175]// 000000006318: D3F300AC 1EB241B8
	v_mfma_f32_16x16x32_fp8_fp8 v[172:175], a[186:187], a[34:35], v[172:175]// 000000006320: D3F300AC 1EB245BA
	buffer_load_dwordx4 a[148:151], v53, s[84:87], 0 offen offset:1024// 000000006328: E05C1400 80959435
	v_mfma_f32_16x16x32_fp8_fp8 v[172:175], a[188:189], a[36:37], v[172:175]// 000000006330: D3F300AC 1EB249BC
	v_mfma_f32_16x16x32_fp8_fp8 v[172:175], a[190:191], a[38:39], v[172:175]// 000000006338: D3F300AC 1EB24DBE
	v_mfma_f32_16x16x32_fp8_fp8 v[184:187], a[192:193], a[32:33], v[184:187]// 000000006340: D3F300B8 1EE241C0
	v_mfma_f32_16x16x32_fp8_fp8 v[184:187], a[194:195], a[34:35], v[184:187]// 000000006348: D3F300B8 1EE245C2
	buffer_load_dwordx4 a[152:155], v54, s[84:87], 0 offen     // 000000006350: E05C1000 80959836
	v_mfma_f32_16x16x32_fp8_fp8 v[184:187], a[196:197], a[36:37], v[184:187]// 000000006358: D3F300B8 1EE249C4
	v_mfma_f32_16x16x32_fp8_fp8 v[184:187], a[198:199], a[38:39], v[184:187]// 000000006360: D3F300B8 1EE24DC6
	v_mfma_f32_16x16x32_fp8_fp8 v[196:199], a[200:201], a[32:33], v[196:199]// 000000006368: D3F300C4 1F1241C8
	v_mfma_f32_16x16x32_fp8_fp8 v[196:199], a[202:203], a[34:35], v[196:199]// 000000006370: D3F300C4 1F1245CA
	buffer_load_dwordx4 a[156:159], v54, s[84:87], 0 offen offset:1024// 000000006378: E05C1400 80959C36
	v_mfma_f32_16x16x32_fp8_fp8 v[196:199], a[204:205], a[36:37], v[196:199]// 000000006380: D3F300C4 1F1249CC
	v_mfma_f32_16x16x32_fp8_fp8 v[196:199], a[206:207], a[38:39], v[196:199]// 000000006388: D3F300C4 1F124DCE
	v_mfma_f32_16x16x32_fp8_fp8 v[208:211], a[208:209], a[32:33], v[208:211]// 000000006390: D3F300D0 1F4241D0
	v_mfma_f32_16x16x32_fp8_fp8 v[208:211], a[210:211], a[34:35], v[208:211]// 000000006398: D3F300D0 1F4245D2
	buffer_load_dwordx4 a[160:163], v55, s[84:87], 0 offen     // 0000000063A0: E05C1000 8095A037
	v_mfma_f32_16x16x32_fp8_fp8 v[208:211], a[212:213], a[36:37], v[208:211]// 0000000063A8: D3F300D0 1F4249D4
	v_mfma_f32_16x16x32_fp8_fp8 v[208:211], a[214:215], a[38:39], v[208:211]// 0000000063B0: D3F300D0 1F424DD6
	v_mfma_f32_16x16x32_fp8_fp8 v[220:223], a[216:217], a[32:33], v[220:223]// 0000000063B8: D3F300DC 1F7241D8
	v_mfma_f32_16x16x32_fp8_fp8 v[220:223], a[218:219], a[34:35], v[220:223]// 0000000063C0: D3F300DC 1F7245DA
	buffer_load_dwordx4 a[164:167], v55, s[84:87], 0 offen offset:1024// 0000000063C8: E05C1400 8095A437
	v_mfma_f32_16x16x32_fp8_fp8 v[220:223], a[220:221], a[36:37], v[220:223]// 0000000063D0: D3F300DC 1F7249DC
	v_mfma_f32_16x16x32_fp8_fp8 v[220:223], a[222:223], a[38:39], v[220:223]// 0000000063D8: D3F300DC 1F724DDE
	v_mfma_f32_16x16x32_fp8_fp8 v[232:235], a[224:225], a[32:33], v[232:235]// 0000000063E0: D3F300E8 1FA241E0
	v_mfma_f32_16x16x32_fp8_fp8 v[232:235], a[226:227], a[34:35], v[232:235]// 0000000063E8: D3F300E8 1FA245E2
	buffer_load_dwordx4 a[168:171], v56, s[84:87], 0 offen     // 0000000063F0: E05C1000 8095A838
	v_mfma_f32_16x16x32_fp8_fp8 v[232:235], a[228:229], a[36:37], v[232:235]// 0000000063F8: D3F300E8 1FA249E4
	v_mfma_f32_16x16x32_fp8_fp8 v[232:235], a[230:231], a[38:39], v[232:235]// 000000006400: D3F300E8 1FA24DE6
	v_mfma_f32_16x16x32_fp8_fp8 v[244:247], a[232:233], a[32:33], v[244:247]// 000000006408: D3F300F4 1FD241E8
	v_mfma_f32_16x16x32_fp8_fp8 v[244:247], a[234:235], a[34:35], v[244:247]// 000000006410: D3F300F4 1FD245EA
	buffer_load_dwordx4 a[172:175], v56, s[84:87], 0 offen offset:1024// 000000006418: E05C1400 8095AC38
	v_mfma_f32_16x16x32_fp8_fp8 v[244:247], a[236:237], a[36:37], v[244:247]// 000000006420: D3F300F4 1FD249EC
	v_mfma_f32_16x16x32_fp8_fp8 v[244:247], a[238:239], a[38:39], v[244:247]// 000000006428: D3F300F4 1FD24DEE
	v_mfma_f32_16x16x32_fp8_fp8 v[164:167], a[176:177], a[40:41], v[164:167]// 000000006430: D3F300A4 1E9251B0
	v_mfma_f32_16x16x32_fp8_fp8 v[164:167], a[178:179], a[42:43], v[164:167]// 000000006438: D3F300A4 1E9255B2
	v_mfma_f32_16x16x32_fp8_fp8 v[164:167], a[180:181], a[44:45], v[164:167]// 000000006440: D3F300A4 1E9259B4
	v_mfma_f32_16x16x32_fp8_fp8 v[164:167], a[182:183], a[46:47], v[164:167]// 000000006448: D3F300A4 1E925DB6
	v_mfma_f32_16x16x32_fp8_fp8 v[176:179], a[184:185], a[40:41], v[176:179]// 000000006450: D3F300B0 1EC251B8
	v_mfma_f32_16x16x32_fp8_fp8 v[176:179], a[186:187], a[42:43], v[176:179]// 000000006458: D3F300B0 1EC255BA
	v_mfma_f32_16x16x32_fp8_fp8 v[176:179], a[188:189], a[44:45], v[176:179]// 000000006460: D3F300B0 1EC259BC
	v_mfma_f32_16x16x32_fp8_fp8 v[176:179], a[190:191], a[46:47], v[176:179]// 000000006468: D3F300B0 1EC25DBE
	v_mfma_f32_16x16x32_fp8_fp8 v[188:191], a[192:193], a[40:41], v[188:191]// 000000006470: D3F300BC 1EF251C0
	v_mfma_f32_16x16x32_fp8_fp8 v[188:191], a[194:195], a[42:43], v[188:191]// 000000006478: D3F300BC 1EF255C2
	v_mfma_f32_16x16x32_fp8_fp8 v[188:191], a[196:197], a[44:45], v[188:191]// 000000006480: D3F300BC 1EF259C4
	v_mfma_f32_16x16x32_fp8_fp8 v[188:191], a[198:199], a[46:47], v[188:191]// 000000006488: D3F300BC 1EF25DC6
	v_mfma_f32_16x16x32_fp8_fp8 v[200:203], a[200:201], a[40:41], v[200:203]// 000000006490: D3F300C8 1F2251C8
	v_mfma_f32_16x16x32_fp8_fp8 v[200:203], a[202:203], a[42:43], v[200:203]// 000000006498: D3F300C8 1F2255CA
	v_mfma_f32_16x16x32_fp8_fp8 v[200:203], a[204:205], a[44:45], v[200:203]// 0000000064A0: D3F300C8 1F2259CC
	v_mfma_f32_16x16x32_fp8_fp8 v[200:203], a[206:207], a[46:47], v[200:203]// 0000000064A8: D3F300C8 1F225DCE
	v_mfma_f32_16x16x32_fp8_fp8 v[212:215], a[208:209], a[40:41], v[212:215]// 0000000064B0: D3F300D4 1F5251D0
	v_mfma_f32_16x16x32_fp8_fp8 v[212:215], a[210:211], a[42:43], v[212:215]// 0000000064B8: D3F300D4 1F5255D2
	v_mfma_f32_16x16x32_fp8_fp8 v[212:215], a[212:213], a[44:45], v[212:215]// 0000000064C0: D3F300D4 1F5259D4
	v_mfma_f32_16x16x32_fp8_fp8 v[212:215], a[214:215], a[46:47], v[212:215]// 0000000064C8: D3F300D4 1F525DD6
	v_mfma_f32_16x16x32_fp8_fp8 v[224:227], a[216:217], a[40:41], v[224:227]// 0000000064D0: D3F300E0 1F8251D8
	v_mfma_f32_16x16x32_fp8_fp8 v[224:227], a[218:219], a[42:43], v[224:227]// 0000000064D8: D3F300E0 1F8255DA
	v_mfma_f32_16x16x32_fp8_fp8 v[224:227], a[220:221], a[44:45], v[224:227]// 0000000064E0: D3F300E0 1F8259DC
	v_mfma_f32_16x16x32_fp8_fp8 v[224:227], a[222:223], a[46:47], v[224:227]// 0000000064E8: D3F300E0 1F825DDE
	v_mfma_f32_16x16x32_fp8_fp8 v[236:239], a[224:225], a[40:41], v[236:239]// 0000000064F0: D3F300EC 1FB251E0
	s_add_u32 s60, 0x180, s80                                  // 0000000064F8: 803C50FF 00000180
	s_cmp_lt_u32 s60, s81                                      // 000000006500: BF0A513C
	s_cselect_b32 s57, s57, 0                                  // 000000006504: 85398039
	v_mfma_f32_16x16x32_fp8_fp8 v[236:239], a[226:227], a[42:43], v[236:239]// 000000006508: D3F300EC 1FB255E2
	s_add_u32 s60, 0x100, s80                                  // 000000006510: 803C50FF 00000100
	s_cmp_lt_u32 s60, s81                                      // 000000006518: BF0A513C
	s_cselect_b32 s58, s58, 0                                  // 00000000651C: 853A803A
	v_mfma_f32_16x16x32_fp8_fp8 v[236:239], a[228:229], a[44:45], v[236:239]// 000000006520: D3F300EC 1FB259E4
	s_add_u32 s60, 0x100, s80                                  // 000000006528: 803C50FF 00000100
	s_cmp_lt_u32 s60, s81                                      // 000000006530: BF0A513C
	s_cselect_b32 s83, s83, 0                                  // 000000006534: 85538053
	v_mfma_f32_16x16x32_fp8_fp8 v[236:239], a[230:231], a[46:47], v[236:239]// 000000006538: D3F300EC 1FB25DE6
	s_add_u32 s24, s58, s24                                    // 000000006540: 8018183A
	s_addc_u32 s25, 0, s25                                     // 000000006544: 82191980
	v_mfma_f32_16x16x32_fp8_fp8 v[248:251], a[232:233], a[40:41], v[248:251]// 000000006548: D3F300F8 1FE251E8
	s_add_u32 s20, s57, s20                                    // 000000006550: 80141439
	s_addc_u32 s21, 0, s21                                     // 000000006554: 82151580
	v_mfma_f32_16x16x32_fp8_fp8 v[248:251], a[234:235], a[42:43], v[248:251]// 000000006558: D3F300F8 1FE255EA
	s_add_u32 s84, s83, s84                                    // 000000006560: 80545453
	s_addc_u32 s85, 0, s85                                     // 000000006564: 82555580
	v_mfma_f32_16x16x32_fp8_fp8 v[248:251], a[236:237], a[44:45], v[248:251]// 000000006568: D3F300F8 1FE259EC
	v_mfma_f32_16x16x32_fp8_fp8 v[248:251], a[238:239], a[46:47], v[248:251]// 000000006570: D3F300F8 1FE25DEE
	s_addk_i32 s80, 0x80                                       // 000000006578: B7500080
	s_cmp_lt_i32 s80, s81                                      // 00000000657C: BF045150
	s_cbranch_scc0 label_0EE2                                  // 000000006580: BF840001
	s_branch label_02FF                                        // 000000006584: BF82F41D

0000000000006588 <label_0EE2>:
	v_mul_f32_dpp v60, v25, v60 row_newbcast:0 row_mask:0xf bank_mask:0xf// 000000006588: 0A7878FA FF015019
	v_mul_f32_dpp v61, v25, v61 row_newbcast:1 row_mask:0xf bank_mask:0xf// 000000006590: 0A7A7AFA FF015119
	v_mul_f32_dpp v62, v25, v62 row_newbcast:2 row_mask:0xf bank_mask:0xf// 000000006598: 0A7C7CFA FF015219
	v_mul_f32_dpp v63, v25, v63 row_newbcast:3 row_mask:0xf bank_mask:0xf// 0000000065A0: 0A7E7EFA FF015319
	v_mul_f32_dpp v64, v25, v64 row_newbcast:0 row_mask:0xf bank_mask:0xf// 0000000065A8: 0A8080FA FF015019
	v_mul_f32_dpp v65, v25, v65 row_newbcast:1 row_mask:0xf bank_mask:0xf// 0000000065B0: 0A8282FA FF015119
	v_mul_f32_dpp v66, v25, v66 row_newbcast:2 row_mask:0xf bank_mask:0xf// 0000000065B8: 0A8484FA FF015219
	v_mul_f32_dpp v67, v25, v67 row_newbcast:3 row_mask:0xf bank_mask:0xf// 0000000065C0: 0A8686FA FF015319
	v_mul_f32_dpp v68, v25, v68 row_newbcast:0 row_mask:0xf bank_mask:0xf// 0000000065C8: 0A8888FA FF015019
	v_mul_f32_dpp v69, v25, v69 row_newbcast:1 row_mask:0xf bank_mask:0xf// 0000000065D0: 0A8A8AFA FF015119
	v_mul_f32_dpp v70, v25, v70 row_newbcast:2 row_mask:0xf bank_mask:0xf// 0000000065D8: 0A8C8CFA FF015219
	v_mul_f32_dpp v71, v25, v71 row_newbcast:3 row_mask:0xf bank_mask:0xf// 0000000065E0: 0A8E8EFA FF015319
	v_mul_f32_dpp v72, v25, v72 row_newbcast:4 row_mask:0xf bank_mask:0xf// 0000000065E8: 0A9090FA FF015419
	v_mul_f32_dpp v73, v25, v73 row_newbcast:5 row_mask:0xf bank_mask:0xf// 0000000065F0: 0A9292FA FF015519
	v_mul_f32_dpp v74, v25, v74 row_newbcast:6 row_mask:0xf bank_mask:0xf// 0000000065F8: 0A9494FA FF015619
	v_mul_f32_dpp v75, v25, v75 row_newbcast:7 row_mask:0xf bank_mask:0xf// 000000006600: 0A9696FA FF015719
	v_mul_f32_dpp v76, v25, v76 row_newbcast:4 row_mask:0xf bank_mask:0xf// 000000006608: 0A9898FA FF015419
	v_mul_f32_dpp v77, v25, v77 row_newbcast:5 row_mask:0xf bank_mask:0xf// 000000006610: 0A9A9AFA FF015519
	v_mul_f32_dpp v78, v25, v78 row_newbcast:6 row_mask:0xf bank_mask:0xf// 000000006618: 0A9C9CFA FF015619
	v_mul_f32_dpp v79, v25, v79 row_newbcast:7 row_mask:0xf bank_mask:0xf// 000000006620: 0A9E9EFA FF015719
	v_mul_f32_dpp v80, v25, v80 row_newbcast:4 row_mask:0xf bank_mask:0xf// 000000006628: 0AA0A0FA FF015419
	v_mul_f32_dpp v81, v25, v81 row_newbcast:5 row_mask:0xf bank_mask:0xf// 000000006630: 0AA2A2FA FF015519
	v_mul_f32_dpp v82, v25, v82 row_newbcast:6 row_mask:0xf bank_mask:0xf// 000000006638: 0AA4A4FA FF015619
	v_mul_f32_dpp v83, v25, v83 row_newbcast:7 row_mask:0xf bank_mask:0xf// 000000006640: 0AA6A6FA FF015719
	v_mul_f32_dpp v84, v25, v84 row_newbcast:8 row_mask:0xf bank_mask:0xf// 000000006648: 0AA8A8FA FF015819
	v_mul_f32_dpp v85, v25, v85 row_newbcast:9 row_mask:0xf bank_mask:0xf// 000000006650: 0AAAAAFA FF015919
	v_mul_f32_dpp v86, v25, v86 row_newbcast:10 row_mask:0xf bank_mask:0xf// 000000006658: 0AACACFA FF015A19
	v_mul_f32_dpp v87, v25, v87 row_newbcast:11 row_mask:0xf bank_mask:0xf// 000000006660: 0AAEAEFA FF015B19
	v_mul_f32_dpp v88, v25, v88 row_newbcast:8 row_mask:0xf bank_mask:0xf// 000000006668: 0AB0B0FA FF015819
	v_mul_f32_dpp v89, v25, v89 row_newbcast:9 row_mask:0xf bank_mask:0xf// 000000006670: 0AB2B2FA FF015919
	v_mul_f32_dpp v90, v25, v90 row_newbcast:10 row_mask:0xf bank_mask:0xf// 000000006678: 0AB4B4FA FF015A19
	v_mul_f32_dpp v91, v25, v91 row_newbcast:11 row_mask:0xf bank_mask:0xf// 000000006680: 0AB6B6FA FF015B19
	v_mul_f32_dpp v92, v25, v92 row_newbcast:8 row_mask:0xf bank_mask:0xf// 000000006688: 0AB8B8FA FF015819
	v_mul_f32_dpp v93, v25, v93 row_newbcast:9 row_mask:0xf bank_mask:0xf// 000000006690: 0ABABAFA FF015919
	v_mul_f32_dpp v94, v25, v94 row_newbcast:10 row_mask:0xf bank_mask:0xf// 000000006698: 0ABCBCFA FF015A19
	v_mul_f32_dpp v95, v25, v95 row_newbcast:11 row_mask:0xf bank_mask:0xf// 0000000066A0: 0ABEBEFA FF015B19
	v_mul_f32_dpp v96, v25, v96 row_newbcast:12 row_mask:0xf bank_mask:0xf// 0000000066A8: 0AC0C0FA FF015C19
	v_mul_f32_dpp v97, v25, v97 row_newbcast:13 row_mask:0xf bank_mask:0xf// 0000000066B0: 0AC2C2FA FF015D19
	v_mul_f32_dpp v98, v25, v98 row_newbcast:14 row_mask:0xf bank_mask:0xf// 0000000066B8: 0AC4C4FA FF015E19
	v_mul_f32_dpp v99, v25, v99 row_newbcast:15 row_mask:0xf bank_mask:0xf// 0000000066C0: 0AC6C6FA FF015F19
	v_mul_f32_dpp v100, v25, v100 row_newbcast:12 row_mask:0xf bank_mask:0xf// 0000000066C8: 0AC8C8FA FF015C19
	v_mul_f32_dpp v101, v25, v101 row_newbcast:13 row_mask:0xf bank_mask:0xf// 0000000066D0: 0ACACAFA FF015D19
	v_mul_f32_dpp v102, v25, v102 row_newbcast:14 row_mask:0xf bank_mask:0xf// 0000000066D8: 0ACCCCFA FF015E19
	v_mul_f32_dpp v103, v25, v103 row_newbcast:15 row_mask:0xf bank_mask:0xf// 0000000066E0: 0ACECEFA FF015F19
	v_mul_f32_dpp v104, v25, v104 row_newbcast:12 row_mask:0xf bank_mask:0xf// 0000000066E8: 0AD0D0FA FF015C19
	v_mul_f32_dpp v105, v25, v105 row_newbcast:13 row_mask:0xf bank_mask:0xf// 0000000066F0: 0AD2D2FA FF015D19
	v_mul_f32_dpp v106, v25, v106 row_newbcast:14 row_mask:0xf bank_mask:0xf// 0000000066F8: 0AD4D4FA FF015E19
	v_mul_f32_dpp v107, v25, v107 row_newbcast:15 row_mask:0xf bank_mask:0xf// 000000006700: 0AD6D6FA FF015F19
	v_mul_f32_dpp v108, v26, v108 row_newbcast:0 row_mask:0xf bank_mask:0xf// 000000006708: 0AD8D8FA FF01501A
	v_mul_f32_dpp v109, v26, v109 row_newbcast:1 row_mask:0xf bank_mask:0xf// 000000006710: 0ADADAFA FF01511A
	v_mul_f32_dpp v110, v26, v110 row_newbcast:2 row_mask:0xf bank_mask:0xf// 000000006718: 0ADCDCFA FF01521A
	v_mul_f32_dpp v111, v26, v111 row_newbcast:3 row_mask:0xf bank_mask:0xf// 000000006720: 0ADEDEFA FF01531A
	v_mul_f32_dpp v112, v26, v112 row_newbcast:0 row_mask:0xf bank_mask:0xf// 000000006728: 0AE0E0FA FF01501A
	v_mul_f32_dpp v113, v26, v113 row_newbcast:1 row_mask:0xf bank_mask:0xf// 000000006730: 0AE2E2FA FF01511A
	v_mul_f32_dpp v114, v26, v114 row_newbcast:2 row_mask:0xf bank_mask:0xf// 000000006738: 0AE4E4FA FF01521A
	v_mul_f32_dpp v115, v26, v115 row_newbcast:3 row_mask:0xf bank_mask:0xf// 000000006740: 0AE6E6FA FF01531A
	v_mul_f32_dpp v116, v26, v116 row_newbcast:0 row_mask:0xf bank_mask:0xf// 000000006748: 0AE8E8FA FF01501A
	v_mul_f32_dpp v117, v26, v117 row_newbcast:1 row_mask:0xf bank_mask:0xf// 000000006750: 0AEAEAFA FF01511A
	v_mul_f32_dpp v118, v26, v118 row_newbcast:2 row_mask:0xf bank_mask:0xf// 000000006758: 0AECECFA FF01521A
	v_mul_f32_dpp v119, v26, v119 row_newbcast:3 row_mask:0xf bank_mask:0xf// 000000006760: 0AEEEEFA FF01531A
	v_mul_f32_dpp v120, v26, v120 row_newbcast:4 row_mask:0xf bank_mask:0xf// 000000006768: 0AF0F0FA FF01541A
	v_mul_f32_dpp v121, v26, v121 row_newbcast:5 row_mask:0xf bank_mask:0xf// 000000006770: 0AF2F2FA FF01551A
	v_mul_f32_dpp v122, v26, v122 row_newbcast:6 row_mask:0xf bank_mask:0xf// 000000006778: 0AF4F4FA FF01561A
	v_mul_f32_dpp v123, v26, v123 row_newbcast:7 row_mask:0xf bank_mask:0xf// 000000006780: 0AF6F6FA FF01571A
	v_mul_f32_dpp v124, v26, v124 row_newbcast:4 row_mask:0xf bank_mask:0xf// 000000006788: 0AF8F8FA FF01541A
	v_mul_f32_dpp v125, v26, v125 row_newbcast:5 row_mask:0xf bank_mask:0xf// 000000006790: 0AFAFAFA FF01551A
	v_mul_f32_dpp v126, v26, v126 row_newbcast:6 row_mask:0xf bank_mask:0xf// 000000006798: 0AFCFCFA FF01561A
	v_mul_f32_dpp v127, v26, v127 row_newbcast:7 row_mask:0xf bank_mask:0xf// 0000000067A0: 0AFEFEFA FF01571A
	v_mul_f32_dpp v128, v26, v128 row_newbcast:4 row_mask:0xf bank_mask:0xf// 0000000067A8: 0B0100FA FF01541A
	v_mul_f32_dpp v129, v26, v129 row_newbcast:5 row_mask:0xf bank_mask:0xf// 0000000067B0: 0B0302FA FF01551A
	v_mul_f32_dpp v130, v26, v130 row_newbcast:6 row_mask:0xf bank_mask:0xf// 0000000067B8: 0B0504FA FF01561A
	v_mul_f32_dpp v131, v26, v131 row_newbcast:7 row_mask:0xf bank_mask:0xf// 0000000067C0: 0B0706FA FF01571A
	v_mul_f32_dpp v132, v26, v132 row_newbcast:8 row_mask:0xf bank_mask:0xf// 0000000067C8: 0B0908FA FF01581A
	v_mul_f32_dpp v133, v26, v133 row_newbcast:9 row_mask:0xf bank_mask:0xf// 0000000067D0: 0B0B0AFA FF01591A
	v_mul_f32_dpp v134, v26, v134 row_newbcast:10 row_mask:0xf bank_mask:0xf// 0000000067D8: 0B0D0CFA FF015A1A
	v_mul_f32_dpp v135, v26, v135 row_newbcast:11 row_mask:0xf bank_mask:0xf// 0000000067E0: 0B0F0EFA FF015B1A
	v_mul_f32_dpp v136, v26, v136 row_newbcast:8 row_mask:0xf bank_mask:0xf// 0000000067E8: 0B1110FA FF01581A
	v_mul_f32_dpp v137, v26, v137 row_newbcast:9 row_mask:0xf bank_mask:0xf// 0000000067F0: 0B1312FA FF01591A
	v_mul_f32_dpp v138, v26, v138 row_newbcast:10 row_mask:0xf bank_mask:0xf// 0000000067F8: 0B1514FA FF015A1A
	v_mul_f32_dpp v139, v26, v139 row_newbcast:11 row_mask:0xf bank_mask:0xf// 000000006800: 0B1716FA FF015B1A
	v_mul_f32_dpp v140, v26, v140 row_newbcast:8 row_mask:0xf bank_mask:0xf// 000000006808: 0B1918FA FF01581A
	v_mul_f32_dpp v141, v26, v141 row_newbcast:9 row_mask:0xf bank_mask:0xf// 000000006810: 0B1B1AFA FF01591A
	v_mul_f32_dpp v142, v26, v142 row_newbcast:10 row_mask:0xf bank_mask:0xf// 000000006818: 0B1D1CFA FF015A1A
	v_mul_f32_dpp v143, v26, v143 row_newbcast:11 row_mask:0xf bank_mask:0xf// 000000006820: 0B1F1EFA FF015B1A
	v_mul_f32_dpp v144, v26, v144 row_newbcast:12 row_mask:0xf bank_mask:0xf// 000000006828: 0B2120FA FF015C1A
	v_mul_f32_dpp v145, v26, v145 row_newbcast:13 row_mask:0xf bank_mask:0xf// 000000006830: 0B2322FA FF015D1A
	v_mul_f32_dpp v146, v26, v146 row_newbcast:14 row_mask:0xf bank_mask:0xf// 000000006838: 0B2524FA FF015E1A
	v_mul_f32_dpp v147, v26, v147 row_newbcast:15 row_mask:0xf bank_mask:0xf// 000000006840: 0B2726FA FF015F1A
	v_mul_f32_dpp v148, v26, v148 row_newbcast:12 row_mask:0xf bank_mask:0xf// 000000006848: 0B2928FA FF015C1A
	v_mul_f32_dpp v149, v26, v149 row_newbcast:13 row_mask:0xf bank_mask:0xf// 000000006850: 0B2B2AFA FF015D1A
	v_mul_f32_dpp v150, v26, v150 row_newbcast:14 row_mask:0xf bank_mask:0xf// 000000006858: 0B2D2CFA FF015E1A
	v_mul_f32_dpp v151, v26, v151 row_newbcast:15 row_mask:0xf bank_mask:0xf// 000000006860: 0B2F2EFA FF015F1A
	v_mul_f32_dpp v152, v26, v152 row_newbcast:12 row_mask:0xf bank_mask:0xf// 000000006868: 0B3130FA FF015C1A
	v_mul_f32_dpp v153, v26, v153 row_newbcast:13 row_mask:0xf bank_mask:0xf// 000000006870: 0B3332FA FF015D1A
	v_mul_f32_dpp v154, v26, v154 row_newbcast:14 row_mask:0xf bank_mask:0xf// 000000006878: 0B3534FA FF015E1A
	v_mul_f32_dpp v155, v26, v155 row_newbcast:15 row_mask:0xf bank_mask:0xf// 000000006880: 0B3736FA FF015F1A
	v_mul_f32_dpp v156, v28, v156 row_newbcast:0 row_mask:0xf bank_mask:0xf// 000000006888: 0B3938FA FF01501C
	v_mul_f32_dpp v157, v28, v157 row_newbcast:1 row_mask:0xf bank_mask:0xf// 000000006890: 0B3B3AFA FF01511C
	v_mul_f32_dpp v158, v28, v158 row_newbcast:2 row_mask:0xf bank_mask:0xf// 000000006898: 0B3D3CFA FF01521C
	v_mul_f32_dpp v159, v28, v159 row_newbcast:3 row_mask:0xf bank_mask:0xf// 0000000068A0: 0B3F3EFA FF01531C
	v_mul_f32_dpp v160, v28, v160 row_newbcast:0 row_mask:0xf bank_mask:0xf// 0000000068A8: 0B4140FA FF01501C
	v_mul_f32_dpp v161, v28, v161 row_newbcast:1 row_mask:0xf bank_mask:0xf// 0000000068B0: 0B4342FA FF01511C
	v_mul_f32_dpp v162, v28, v162 row_newbcast:2 row_mask:0xf bank_mask:0xf// 0000000068B8: 0B4544FA FF01521C
	v_mul_f32_dpp v163, v28, v163 row_newbcast:3 row_mask:0xf bank_mask:0xf// 0000000068C0: 0B4746FA FF01531C
	v_mul_f32_dpp v164, v28, v164 row_newbcast:0 row_mask:0xf bank_mask:0xf// 0000000068C8: 0B4948FA FF01501C
	v_mul_f32_dpp v165, v28, v165 row_newbcast:1 row_mask:0xf bank_mask:0xf// 0000000068D0: 0B4B4AFA FF01511C
	v_mul_f32_dpp v166, v28, v166 row_newbcast:2 row_mask:0xf bank_mask:0xf// 0000000068D8: 0B4D4CFA FF01521C
	v_mul_f32_dpp v167, v28, v167 row_newbcast:3 row_mask:0xf bank_mask:0xf// 0000000068E0: 0B4F4EFA FF01531C
	v_mul_f32_dpp v168, v28, v168 row_newbcast:4 row_mask:0xf bank_mask:0xf// 0000000068E8: 0B5150FA FF01541C
	v_mul_f32_dpp v169, v28, v169 row_newbcast:5 row_mask:0xf bank_mask:0xf// 0000000068F0: 0B5352FA FF01551C
	v_mul_f32_dpp v170, v28, v170 row_newbcast:6 row_mask:0xf bank_mask:0xf// 0000000068F8: 0B5554FA FF01561C
	v_mul_f32_dpp v171, v28, v171 row_newbcast:7 row_mask:0xf bank_mask:0xf// 000000006900: 0B5756FA FF01571C
	v_mul_f32_dpp v172, v28, v172 row_newbcast:4 row_mask:0xf bank_mask:0xf// 000000006908: 0B5958FA FF01541C
	v_mul_f32_dpp v173, v28, v173 row_newbcast:5 row_mask:0xf bank_mask:0xf// 000000006910: 0B5B5AFA FF01551C
	v_mul_f32_dpp v174, v28, v174 row_newbcast:6 row_mask:0xf bank_mask:0xf// 000000006918: 0B5D5CFA FF01561C
	v_mul_f32_dpp v175, v28, v175 row_newbcast:7 row_mask:0xf bank_mask:0xf// 000000006920: 0B5F5EFA FF01571C
	v_mul_f32_dpp v176, v28, v176 row_newbcast:4 row_mask:0xf bank_mask:0xf// 000000006928: 0B6160FA FF01541C
	v_mul_f32_dpp v177, v28, v177 row_newbcast:5 row_mask:0xf bank_mask:0xf// 000000006930: 0B6362FA FF01551C
	v_mul_f32_dpp v178, v28, v178 row_newbcast:6 row_mask:0xf bank_mask:0xf// 000000006938: 0B6564FA FF01561C
	v_mul_f32_dpp v179, v28, v179 row_newbcast:7 row_mask:0xf bank_mask:0xf// 000000006940: 0B6766FA FF01571C
	v_mul_f32_dpp v180, v28, v180 row_newbcast:8 row_mask:0xf bank_mask:0xf// 000000006948: 0B6968FA FF01581C
	v_mul_f32_dpp v181, v28, v181 row_newbcast:9 row_mask:0xf bank_mask:0xf// 000000006950: 0B6B6AFA FF01591C
	v_mul_f32_dpp v182, v28, v182 row_newbcast:10 row_mask:0xf bank_mask:0xf// 000000006958: 0B6D6CFA FF015A1C
	v_mul_f32_dpp v183, v28, v183 row_newbcast:11 row_mask:0xf bank_mask:0xf// 000000006960: 0B6F6EFA FF015B1C
	v_mul_f32_dpp v184, v28, v184 row_newbcast:8 row_mask:0xf bank_mask:0xf// 000000006968: 0B7170FA FF01581C
	v_mul_f32_dpp v185, v28, v185 row_newbcast:9 row_mask:0xf bank_mask:0xf// 000000006970: 0B7372FA FF01591C
	v_mul_f32_dpp v186, v28, v186 row_newbcast:10 row_mask:0xf bank_mask:0xf// 000000006978: 0B7574FA FF015A1C
	v_mul_f32_dpp v187, v28, v187 row_newbcast:11 row_mask:0xf bank_mask:0xf// 000000006980: 0B7776FA FF015B1C
	v_mul_f32_dpp v188, v28, v188 row_newbcast:8 row_mask:0xf bank_mask:0xf// 000000006988: 0B7978FA FF01581C
	v_mul_f32_dpp v189, v28, v189 row_newbcast:9 row_mask:0xf bank_mask:0xf// 000000006990: 0B7B7AFA FF01591C
	v_mul_f32_dpp v190, v28, v190 row_newbcast:10 row_mask:0xf bank_mask:0xf// 000000006998: 0B7D7CFA FF015A1C
	v_mul_f32_dpp v191, v28, v191 row_newbcast:11 row_mask:0xf bank_mask:0xf// 0000000069A0: 0B7F7EFA FF015B1C
	v_mul_f32_dpp v192, v28, v192 row_newbcast:12 row_mask:0xf bank_mask:0xf// 0000000069A8: 0B8180FA FF015C1C
	v_mul_f32_dpp v193, v28, v193 row_newbcast:13 row_mask:0xf bank_mask:0xf// 0000000069B0: 0B8382FA FF015D1C
	v_mul_f32_dpp v194, v28, v194 row_newbcast:14 row_mask:0xf bank_mask:0xf// 0000000069B8: 0B8584FA FF015E1C
	v_mul_f32_dpp v195, v28, v195 row_newbcast:15 row_mask:0xf bank_mask:0xf// 0000000069C0: 0B8786FA FF015F1C
	v_mul_f32_dpp v196, v28, v196 row_newbcast:12 row_mask:0xf bank_mask:0xf// 0000000069C8: 0B8988FA FF015C1C
	v_mul_f32_dpp v197, v28, v197 row_newbcast:13 row_mask:0xf bank_mask:0xf// 0000000069D0: 0B8B8AFA FF015D1C
	v_mul_f32_dpp v198, v28, v198 row_newbcast:14 row_mask:0xf bank_mask:0xf// 0000000069D8: 0B8D8CFA FF015E1C
	v_mul_f32_dpp v199, v28, v199 row_newbcast:15 row_mask:0xf bank_mask:0xf// 0000000069E0: 0B8F8EFA FF015F1C
	v_mul_f32_dpp v200, v28, v200 row_newbcast:12 row_mask:0xf bank_mask:0xf// 0000000069E8: 0B9190FA FF015C1C
	v_mul_f32_dpp v201, v28, v201 row_newbcast:13 row_mask:0xf bank_mask:0xf// 0000000069F0: 0B9392FA FF015D1C
	v_mul_f32_dpp v202, v28, v202 row_newbcast:14 row_mask:0xf bank_mask:0xf// 0000000069F8: 0B9594FA FF015E1C
	v_mul_f32_dpp v203, v28, v203 row_newbcast:15 row_mask:0xf bank_mask:0xf// 000000006A00: 0B9796FA FF015F1C
	v_mul_f32_dpp v204, v29, v204 row_newbcast:0 row_mask:0xf bank_mask:0xf// 000000006A08: 0B9998FA FF01501D
	v_mul_f32_dpp v205, v29, v205 row_newbcast:1 row_mask:0xf bank_mask:0xf// 000000006A10: 0B9B9AFA FF01511D
	v_mul_f32_dpp v206, v29, v206 row_newbcast:2 row_mask:0xf bank_mask:0xf// 000000006A18: 0B9D9CFA FF01521D
	v_mul_f32_dpp v207, v29, v207 row_newbcast:3 row_mask:0xf bank_mask:0xf// 000000006A20: 0B9F9EFA FF01531D
	v_mul_f32_dpp v208, v29, v208 row_newbcast:0 row_mask:0xf bank_mask:0xf// 000000006A28: 0BA1A0FA FF01501D
	v_mul_f32_dpp v209, v29, v209 row_newbcast:1 row_mask:0xf bank_mask:0xf// 000000006A30: 0BA3A2FA FF01511D
	v_mul_f32_dpp v210, v29, v210 row_newbcast:2 row_mask:0xf bank_mask:0xf// 000000006A38: 0BA5A4FA FF01521D
	v_mul_f32_dpp v211, v29, v211 row_newbcast:3 row_mask:0xf bank_mask:0xf// 000000006A40: 0BA7A6FA FF01531D
	v_mul_f32_dpp v212, v29, v212 row_newbcast:0 row_mask:0xf bank_mask:0xf// 000000006A48: 0BA9A8FA FF01501D
	v_mul_f32_dpp v213, v29, v213 row_newbcast:1 row_mask:0xf bank_mask:0xf// 000000006A50: 0BABAAFA FF01511D
	v_mul_f32_dpp v214, v29, v214 row_newbcast:2 row_mask:0xf bank_mask:0xf// 000000006A58: 0BADACFA FF01521D
	v_mul_f32_dpp v215, v29, v215 row_newbcast:3 row_mask:0xf bank_mask:0xf// 000000006A60: 0BAFAEFA FF01531D
	v_mul_f32_dpp v216, v29, v216 row_newbcast:4 row_mask:0xf bank_mask:0xf// 000000006A68: 0BB1B0FA FF01541D
	v_mul_f32_dpp v217, v29, v217 row_newbcast:5 row_mask:0xf bank_mask:0xf// 000000006A70: 0BB3B2FA FF01551D
	v_mul_f32_dpp v218, v29, v218 row_newbcast:6 row_mask:0xf bank_mask:0xf// 000000006A78: 0BB5B4FA FF01561D
	v_mul_f32_dpp v219, v29, v219 row_newbcast:7 row_mask:0xf bank_mask:0xf// 000000006A80: 0BB7B6FA FF01571D
	v_mul_f32_dpp v220, v29, v220 row_newbcast:4 row_mask:0xf bank_mask:0xf// 000000006A88: 0BB9B8FA FF01541D
	v_mul_f32_dpp v221, v29, v221 row_newbcast:5 row_mask:0xf bank_mask:0xf// 000000006A90: 0BBBBAFA FF01551D
	v_mul_f32_dpp v222, v29, v222 row_newbcast:6 row_mask:0xf bank_mask:0xf// 000000006A98: 0BBDBCFA FF01561D
	v_mul_f32_dpp v223, v29, v223 row_newbcast:7 row_mask:0xf bank_mask:0xf// 000000006AA0: 0BBFBEFA FF01571D
	v_mul_f32_dpp v224, v29, v224 row_newbcast:4 row_mask:0xf bank_mask:0xf// 000000006AA8: 0BC1C0FA FF01541D
	v_mul_f32_dpp v225, v29, v225 row_newbcast:5 row_mask:0xf bank_mask:0xf// 000000006AB0: 0BC3C2FA FF01551D
	v_mul_f32_dpp v226, v29, v226 row_newbcast:6 row_mask:0xf bank_mask:0xf// 000000006AB8: 0BC5C4FA FF01561D
	v_mul_f32_dpp v227, v29, v227 row_newbcast:7 row_mask:0xf bank_mask:0xf// 000000006AC0: 0BC7C6FA FF01571D
	v_mul_f32_dpp v228, v29, v228 row_newbcast:8 row_mask:0xf bank_mask:0xf// 000000006AC8: 0BC9C8FA FF01581D
	v_mul_f32_dpp v229, v29, v229 row_newbcast:9 row_mask:0xf bank_mask:0xf// 000000006AD0: 0BCBCAFA FF01591D
	v_mul_f32_dpp v230, v29, v230 row_newbcast:10 row_mask:0xf bank_mask:0xf// 000000006AD8: 0BCDCCFA FF015A1D
	v_mul_f32_dpp v231, v29, v231 row_newbcast:11 row_mask:0xf bank_mask:0xf// 000000006AE0: 0BCFCEFA FF015B1D
	v_mul_f32_dpp v232, v29, v232 row_newbcast:8 row_mask:0xf bank_mask:0xf// 000000006AE8: 0BD1D0FA FF01581D
	v_mul_f32_dpp v233, v29, v233 row_newbcast:9 row_mask:0xf bank_mask:0xf// 000000006AF0: 0BD3D2FA FF01591D
	v_mul_f32_dpp v234, v29, v234 row_newbcast:10 row_mask:0xf bank_mask:0xf// 000000006AF8: 0BD5D4FA FF015A1D
	v_mul_f32_dpp v235, v29, v235 row_newbcast:11 row_mask:0xf bank_mask:0xf// 000000006B00: 0BD7D6FA FF015B1D
	v_mul_f32_dpp v236, v29, v236 row_newbcast:8 row_mask:0xf bank_mask:0xf// 000000006B08: 0BD9D8FA FF01581D
	v_mul_f32_dpp v237, v29, v237 row_newbcast:9 row_mask:0xf bank_mask:0xf// 000000006B10: 0BDBDAFA FF01591D
	v_mul_f32_dpp v238, v29, v238 row_newbcast:10 row_mask:0xf bank_mask:0xf// 000000006B18: 0BDDDCFA FF015A1D
	v_mul_f32_dpp v239, v29, v239 row_newbcast:11 row_mask:0xf bank_mask:0xf// 000000006B20: 0BDFDEFA FF015B1D
	v_mul_f32_dpp v240, v29, v240 row_newbcast:12 row_mask:0xf bank_mask:0xf// 000000006B28: 0BE1E0FA FF015C1D
	v_mul_f32_dpp v241, v29, v241 row_newbcast:13 row_mask:0xf bank_mask:0xf// 000000006B30: 0BE3E2FA FF015D1D
	v_mul_f32_dpp v242, v29, v242 row_newbcast:14 row_mask:0xf bank_mask:0xf// 000000006B38: 0BE5E4FA FF015E1D
	v_mul_f32_dpp v243, v29, v243 row_newbcast:15 row_mask:0xf bank_mask:0xf// 000000006B40: 0BE7E6FA FF015F1D
	v_mul_f32_dpp v244, v29, v244 row_newbcast:12 row_mask:0xf bank_mask:0xf// 000000006B48: 0BE9E8FA FF015C1D
	v_mul_f32_dpp v245, v29, v245 row_newbcast:13 row_mask:0xf bank_mask:0xf// 000000006B50: 0BEBEAFA FF015D1D
	v_mul_f32_dpp v246, v29, v246 row_newbcast:14 row_mask:0xf bank_mask:0xf// 000000006B58: 0BEDECFA FF015E1D
	v_mul_f32_dpp v247, v29, v247 row_newbcast:15 row_mask:0xf bank_mask:0xf// 000000006B60: 0BEFEEFA FF015F1D
	v_mul_f32_dpp v248, v29, v248 row_newbcast:12 row_mask:0xf bank_mask:0xf// 000000006B68: 0BF1F0FA FF015C1D
	v_mul_f32_dpp v249, v29, v249 row_newbcast:13 row_mask:0xf bank_mask:0xf// 000000006B70: 0BF3F2FA FF015D1D
	v_mul_f32_dpp v250, v29, v250 row_newbcast:14 row_mask:0xf bank_mask:0xf// 000000006B78: 0BF5F4FA FF015E1D
	v_mul_f32_dpp v251, v29, v251 row_newbcast:15 row_mask:0xf bank_mask:0xf// 000000006B80: 0BF7F6FA FF015F1D
	v_mul_f32_e32 v34, v34, v252                               // 000000006B88: 0A45F922
	v_mov_b32_e32 v4, v34                                      // 000000006B8C: 7E080322
	v_mov_b32_e32 v5, v4                                       // 000000006B90: 7E0A0304
	v_pk_mul_f32 v[60:61], v[4:5], v[60:61]                    // 000000006B94: D3B1403C 18027904
	v_pk_mul_f32 v[156:157], v[4:5], v[156:157]                // 000000006B9C: D3B1409C 18033904
	v_pk_mul_f32 v[62:63], v[4:5], v[62:63]                    // 000000006BA4: D3B1403E 18027D04
	v_pk_mul_f32 v[158:159], v[4:5], v[158:159]                // 000000006BAC: D3B1409E 18033D04
	v_pk_mul_f32 v[72:73], v[4:5], v[72:73]                    // 000000006BB4: D3B14048 18029104
	v_pk_mul_f32 v[168:169], v[4:5], v[168:169]                // 000000006BBC: D3B140A8 18035104
	v_pk_mul_f32 v[74:75], v[4:5], v[74:75]                    // 000000006BC4: D3B1404A 18029504
	v_pk_mul_f32 v[170:171], v[4:5], v[170:171]                // 000000006BCC: D3B140AA 18035504
	v_pk_mul_f32 v[84:85], v[4:5], v[84:85]                    // 000000006BD4: D3B14054 1802A904
	v_pk_mul_f32 v[180:181], v[4:5], v[180:181]                // 000000006BDC: D3B140B4 18036904
	v_pk_mul_f32 v[86:87], v[4:5], v[86:87]                    // 000000006BE4: D3B14056 1802AD04
	v_pk_mul_f32 v[182:183], v[4:5], v[182:183]                // 000000006BEC: D3B140B6 18036D04
	v_pk_mul_f32 v[96:97], v[4:5], v[96:97]                    // 000000006BF4: D3B14060 1802C104
	v_pk_mul_f32 v[192:193], v[4:5], v[192:193]                // 000000006BFC: D3B140C0 18038104
	v_pk_mul_f32 v[98:99], v[4:5], v[98:99]                    // 000000006C04: D3B14062 1802C504
	v_pk_mul_f32 v[194:195], v[4:5], v[194:195]                // 000000006C0C: D3B140C2 18038504
	v_pk_mul_f32 v[108:109], v[4:5], v[108:109]                // 000000006C14: D3B1406C 1802D904
	v_pk_mul_f32 v[204:205], v[4:5], v[204:205]                // 000000006C1C: D3B140CC 18039904
	v_pk_mul_f32 v[110:111], v[4:5], v[110:111]                // 000000006C24: D3B1406E 1802DD04
	v_pk_mul_f32 v[206:207], v[4:5], v[206:207]                // 000000006C2C: D3B140CE 18039D04
	v_pk_mul_f32 v[120:121], v[4:5], v[120:121]                // 000000006C34: D3B14078 1802F104
	v_pk_mul_f32 v[216:217], v[4:5], v[216:217]                // 000000006C3C: D3B140D8 1803B104
	v_pk_mul_f32 v[122:123], v[4:5], v[122:123]                // 000000006C44: D3B1407A 1802F504
	v_pk_mul_f32 v[218:219], v[4:5], v[218:219]                // 000000006C4C: D3B140DA 1803B504
	v_pk_mul_f32 v[132:133], v[4:5], v[132:133]                // 000000006C54: D3B14084 18030904
	v_pk_mul_f32 v[228:229], v[4:5], v[228:229]                // 000000006C5C: D3B140E4 1803C904
	v_pk_mul_f32 v[134:135], v[4:5], v[134:135]                // 000000006C64: D3B14086 18030D04
	v_pk_mul_f32 v[230:231], v[4:5], v[230:231]                // 000000006C6C: D3B140E6 1803CD04
	v_pk_mul_f32 v[144:145], v[4:5], v[144:145]                // 000000006C74: D3B14090 18032104
	v_pk_mul_f32 v[240:241], v[4:5], v[240:241]                // 000000006C7C: D3B140F0 1803E104
	v_pk_mul_f32 v[146:147], v[4:5], v[146:147]                // 000000006C84: D3B14092 18032504
	v_pk_mul_f32 v[242:243], v[4:5], v[242:243]                // 000000006C8C: D3B140F2 1803E504
	v_mul_f32_e32 v35, v35, v253                               // 000000006C94: 0A47FB23
	v_mov_b32_e32 v4, v35                                      // 000000006C98: 7E080323
	v_mov_b32_e32 v5, v4                                       // 000000006C9C: 7E0A0304
	v_pk_mul_f32 v[64:65], v[4:5], v[64:65]                    // 000000006CA0: D3B14040 18028104
	v_pk_mul_f32 v[160:161], v[4:5], v[160:161]                // 000000006CA8: D3B140A0 18034104
	v_pk_mul_f32 v[66:67], v[4:5], v[66:67]                    // 000000006CB0: D3B14042 18028504
	v_pk_mul_f32 v[162:163], v[4:5], v[162:163]                // 000000006CB8: D3B140A2 18034504
	v_pk_mul_f32 v[76:77], v[4:5], v[76:77]                    // 000000006CC0: D3B1404C 18029904
	v_pk_mul_f32 v[172:173], v[4:5], v[172:173]                // 000000006CC8: D3B140AC 18035904
	v_pk_mul_f32 v[78:79], v[4:5], v[78:79]                    // 000000006CD0: D3B1404E 18029D04
	v_pk_mul_f32 v[174:175], v[4:5], v[174:175]                // 000000006CD8: D3B140AE 18035D04
	v_pk_mul_f32 v[88:89], v[4:5], v[88:89]                    // 000000006CE0: D3B14058 1802B104
	v_pk_mul_f32 v[184:185], v[4:5], v[184:185]                // 000000006CE8: D3B140B8 18037104
	v_pk_mul_f32 v[90:91], v[4:5], v[90:91]                    // 000000006CF0: D3B1405A 1802B504
	v_pk_mul_f32 v[186:187], v[4:5], v[186:187]                // 000000006CF8: D3B140BA 18037504
	v_pk_mul_f32 v[100:101], v[4:5], v[100:101]                // 000000006D00: D3B14064 1802C904
	v_pk_mul_f32 v[196:197], v[4:5], v[196:197]                // 000000006D08: D3B140C4 18038904
	v_pk_mul_f32 v[102:103], v[4:5], v[102:103]                // 000000006D10: D3B14066 1802CD04
	v_pk_mul_f32 v[198:199], v[4:5], v[198:199]                // 000000006D18: D3B140C6 18038D04
	v_pk_mul_f32 v[112:113], v[4:5], v[112:113]                // 000000006D20: D3B14070 1802E104
	v_pk_mul_f32 v[208:209], v[4:5], v[208:209]                // 000000006D28: D3B140D0 1803A104
	v_pk_mul_f32 v[114:115], v[4:5], v[114:115]                // 000000006D30: D3B14072 1802E504
	v_pk_mul_f32 v[210:211], v[4:5], v[210:211]                // 000000006D38: D3B140D2 1803A504
	v_pk_mul_f32 v[124:125], v[4:5], v[124:125]                // 000000006D40: D3B1407C 1802F904
	v_pk_mul_f32 v[220:221], v[4:5], v[220:221]                // 000000006D48: D3B140DC 1803B904
	v_pk_mul_f32 v[126:127], v[4:5], v[126:127]                // 000000006D50: D3B1407E 1802FD04
	v_pk_mul_f32 v[222:223], v[4:5], v[222:223]                // 000000006D58: D3B140DE 1803BD04
	v_pk_mul_f32 v[136:137], v[4:5], v[136:137]                // 000000006D60: D3B14088 18031104
	v_pk_mul_f32 v[232:233], v[4:5], v[232:233]                // 000000006D68: D3B140E8 1803D104
	v_pk_mul_f32 v[138:139], v[4:5], v[138:139]                // 000000006D70: D3B1408A 18031504
	v_pk_mul_f32 v[234:235], v[4:5], v[234:235]                // 000000006D78: D3B140EA 1803D504
	v_pk_mul_f32 v[148:149], v[4:5], v[148:149]                // 000000006D80: D3B14094 18032904
	v_pk_mul_f32 v[244:245], v[4:5], v[244:245]                // 000000006D88: D3B140F4 1803E904
	v_pk_mul_f32 v[150:151], v[4:5], v[150:151]                // 000000006D90: D3B14096 18032D04
	v_pk_mul_f32 v[246:247], v[4:5], v[246:247]                // 000000006D98: D3B140F6 1803ED04
	v_mul_f32_e32 v36, v36, v254                               // 000000006DA0: 0A49FD24
	v_mov_b32_e32 v4, v36                                      // 000000006DA4: 7E080324
	v_mov_b32_e32 v5, v4                                       // 000000006DA8: 7E0A0304
	v_pk_mul_f32 v[68:69], v[4:5], v[68:69]                    // 000000006DAC: D3B14044 18028904
	v_pk_mul_f32 v[164:165], v[4:5], v[164:165]                // 000000006DB4: D3B140A4 18034904
	v_pk_mul_f32 v[70:71], v[4:5], v[70:71]                    // 000000006DBC: D3B14046 18028D04
	v_pk_mul_f32 v[166:167], v[4:5], v[166:167]                // 000000006DC4: D3B140A6 18034D04
	v_pk_mul_f32 v[80:81], v[4:5], v[80:81]                    // 000000006DCC: D3B14050 1802A104
	v_pk_mul_f32 v[176:177], v[4:5], v[176:177]                // 000000006DD4: D3B140B0 18036104
	v_pk_mul_f32 v[82:83], v[4:5], v[82:83]                    // 000000006DDC: D3B14052 1802A504
	v_pk_mul_f32 v[178:179], v[4:5], v[178:179]                // 000000006DE4: D3B140B2 18036504
	v_pk_mul_f32 v[92:93], v[4:5], v[92:93]                    // 000000006DEC: D3B1405C 1802B904
	v_pk_mul_f32 v[188:189], v[4:5], v[188:189]                // 000000006DF4: D3B140BC 18037904
	v_pk_mul_f32 v[94:95], v[4:5], v[94:95]                    // 000000006DFC: D3B1405E 1802BD04
	v_pk_mul_f32 v[190:191], v[4:5], v[190:191]                // 000000006E04: D3B140BE 18037D04
	v_pk_mul_f32 v[104:105], v[4:5], v[104:105]                // 000000006E0C: D3B14068 1802D104
	v_pk_mul_f32 v[200:201], v[4:5], v[200:201]                // 000000006E14: D3B140C8 18039104
	v_pk_mul_f32 v[106:107], v[4:5], v[106:107]                // 000000006E1C: D3B1406A 1802D504
	v_pk_mul_f32 v[202:203], v[4:5], v[202:203]                // 000000006E24: D3B140CA 18039504
	v_pk_mul_f32 v[116:117], v[4:5], v[116:117]                // 000000006E2C: D3B14074 1802E904
	v_pk_mul_f32 v[212:213], v[4:5], v[212:213]                // 000000006E34: D3B140D4 1803A904
	v_pk_mul_f32 v[118:119], v[4:5], v[118:119]                // 000000006E3C: D3B14076 1802ED04
	v_pk_mul_f32 v[214:215], v[4:5], v[214:215]                // 000000006E44: D3B140D6 1803AD04
	v_pk_mul_f32 v[128:129], v[4:5], v[128:129]                // 000000006E4C: D3B14080 18030104
	v_pk_mul_f32 v[224:225], v[4:5], v[224:225]                // 000000006E54: D3B140E0 1803C104
	v_pk_mul_f32 v[130:131], v[4:5], v[130:131]                // 000000006E5C: D3B14082 18030504
	v_pk_mul_f32 v[226:227], v[4:5], v[226:227]                // 000000006E64: D3B140E2 1803C504
	v_pk_mul_f32 v[140:141], v[4:5], v[140:141]                // 000000006E6C: D3B1408C 18031904
	v_pk_mul_f32 v[236:237], v[4:5], v[236:237]                // 000000006E74: D3B140EC 1803D904
	v_pk_mul_f32 v[142:143], v[4:5], v[142:143]                // 000000006E7C: D3B1408E 18031D04
	v_pk_mul_f32 v[238:239], v[4:5], v[238:239]                // 000000006E84: D3B140EE 1803DD04
	v_pk_mul_f32 v[152:153], v[4:5], v[152:153]                // 000000006E8C: D3B14098 18033104
	v_pk_mul_f32 v[248:249], v[4:5], v[248:249]                // 000000006E94: D3B140F8 1803F104
	v_pk_mul_f32 v[154:155], v[4:5], v[154:155]                // 000000006E9C: D3B1409A 18033504
	v_pk_mul_f32 v[250:251], v[4:5], v[250:251]                // 000000006EA4: D3B140FA 1803F504
	s_cmp_eq_u32 s88, 0                                        // 000000006EAC: BF068058
	s_cbranch_scc0 label_1C82                                  // 000000006EB0: BF840B55
	s_cmp_eq_u32 s89, 0                                        // 000000006EB4: BF068059
	s_cbranch_scc1 label_14F4                                  // 000000006EB8: BF8503C5
	v_mov_b32_e32 v8, v1                                       // 000000006EBC: 7E100301
	v_mov_b32_e32 v9, v1                                       // 000000006EC0: 7E120301
	s_mov_b32 s60, s6                                          // 000000006EC4: BEBC0006
	s_mov_b32 s61, s6                                          // 000000006EC8: BEBD0006
	v_pk_mul_f32 v[4:5], v[60:61], v[60:61]                    // 000000006ECC: D3B14004 1802793C
	v_pk_mul_f32 v[6:7], v[62:63], v[62:63]                    // 000000006ED4: D3B14006 18027D3E
	v_pk_fma_f32 v[4:5], v[4:5], s[78:79], v[8:9]              // 000000006EDC: D3B04004 1C209D04
	v_pk_fma_f32 v[6:7], v[6:7], s[78:79], v[8:9]              // 000000006EE4: D3B04006 1C209D06
	v_pk_mul_f32 v[4:5], v[4:5], v[60:61]                      // 000000006EEC: D3B14004 18027904
	v_pk_mul_f32 v[6:7], v[6:7], v[62:63]                      // 000000006EF4: D3B14006 18027D06
	v_pk_mul_f32 v[4:5], v[4:5], s[60:61]                      // 000000006EFC: D3B14004 18007904
	v_pk_mul_f32 v[6:7], v[6:7], s[60:61]                      // 000000006F04: D3B14006 18007906
	v_exp_f32_e32 v4, v4                                       // 000000006F0C: 7E084104
	v_exp_f32_e32 v5, v5                                       // 000000006F10: 7E0A4105
	v_exp_f32_e32 v6, v6                                       // 000000006F14: 7E0C4106
	v_exp_f32_e32 v7, v7                                       // 000000006F18: 7E0E4107
	v_add_f32_e64 v4, v4, 1.0                                  // 000000006F1C: D1010004 0001E504
	v_add_f32_e64 v5, v5, 1.0                                  // 000000006F24: D1010005 0001E505
	v_add_f32_e64 v6, v6, 1.0                                  // 000000006F2C: D1010006 0001E506
	v_add_f32_e64 v7, v7, 1.0                                  // 000000006F34: D1010007 0001E507
	v_rcp_f32_e32 v4, v4                                       // 000000006F3C: 7E084504
	v_rcp_f32_e32 v5, v5                                       // 000000006F40: 7E0A4505
	v_rcp_f32_e32 v6, v6                                       // 000000006F44: 7E0C4506
	v_rcp_f32_e32 v7, v7                                       // 000000006F48: 7E0E4507
	v_mul_f32_e32 v60, v60, v4                                 // 000000006F4C: 0A78093C
	v_mul_f32_e32 v61, v61, v5                                 // 000000006F50: 0A7A0B3D
	v_mul_f32_e32 v62, v62, v6                                 // 000000006F54: 0A7C0D3E
	v_mul_f32_e32 v63, v63, v7                                 // 000000006F58: 0A7E0F3F
	v_mul_f32_e32 v60, v60, v156                               // 000000006F5C: 0A79393C
	v_mul_f32_e32 v61, v61, v157                               // 000000006F60: 0A7B3B3D
	v_mul_f32_e32 v62, v62, v158                               // 000000006F64: 0A7D3D3E
	v_mul_f32_e32 v63, v63, v159                               // 000000006F68: 0A7F3F3F
	v_pk_mul_f32 v[4:5], v[64:65], v[64:65]                    // 000000006F6C: D3B14004 18028140
	v_pk_mul_f32 v[6:7], v[66:67], v[66:67]                    // 000000006F74: D3B14006 18028542
	v_pk_fma_f32 v[4:5], v[4:5], s[78:79], v[8:9]              // 000000006F7C: D3B04004 1C209D04
	v_pk_fma_f32 v[6:7], v[6:7], s[78:79], v[8:9]              // 000000006F84: D3B04006 1C209D06
	v_pk_mul_f32 v[4:5], v[4:5], v[64:65]                      // 000000006F8C: D3B14004 18028104
	v_pk_mul_f32 v[6:7], v[6:7], v[66:67]                      // 000000006F94: D3B14006 18028506
	v_pk_mul_f32 v[4:5], v[4:5], s[60:61]                      // 000000006F9C: D3B14004 18007904
	v_pk_mul_f32 v[6:7], v[6:7], s[60:61]                      // 000000006FA4: D3B14006 18007906
	v_exp_f32_e32 v4, v4                                       // 000000006FAC: 7E084104
	v_exp_f32_e32 v5, v5                                       // 000000006FB0: 7E0A4105
	v_exp_f32_e32 v6, v6                                       // 000000006FB4: 7E0C4106
	v_exp_f32_e32 v7, v7                                       // 000000006FB8: 7E0E4107
	v_add_f32_e64 v4, v4, 1.0                                  // 000000006FBC: D1010004 0001E504
	v_add_f32_e64 v5, v5, 1.0                                  // 000000006FC4: D1010005 0001E505
	v_add_f32_e64 v6, v6, 1.0                                  // 000000006FCC: D1010006 0001E506
	v_add_f32_e64 v7, v7, 1.0                                  // 000000006FD4: D1010007 0001E507
	v_rcp_f32_e32 v4, v4                                       // 000000006FDC: 7E084504
	v_rcp_f32_e32 v5, v5                                       // 000000006FE0: 7E0A4505
	v_rcp_f32_e32 v6, v6                                       // 000000006FE4: 7E0C4506
	v_rcp_f32_e32 v7, v7                                       // 000000006FE8: 7E0E4507
	v_mul_f32_e32 v64, v64, v4                                 // 000000006FEC: 0A800940
	v_mul_f32_e32 v65, v65, v5                                 // 000000006FF0: 0A820B41
	v_mul_f32_e32 v66, v66, v6                                 // 000000006FF4: 0A840D42
	v_mul_f32_e32 v67, v67, v7                                 // 000000006FF8: 0A860F43
	v_mul_f32_e32 v64, v64, v160                               // 000000006FFC: 0A814140
	v_mul_f32_e32 v65, v65, v161                               // 000000007000: 0A834341
	v_mul_f32_e32 v66, v66, v162                               // 000000007004: 0A854542
	v_mul_f32_e32 v67, v67, v163                               // 000000007008: 0A874743
	v_pk_mul_f32 v[4:5], v[68:69], v[68:69]                    // 00000000700C: D3B14004 18028944
	v_pk_mul_f32 v[6:7], v[70:71], v[70:71]                    // 000000007014: D3B14006 18028D46
	v_pk_fma_f32 v[4:5], v[4:5], s[78:79], v[8:9]              // 00000000701C: D3B04004 1C209D04
	v_pk_fma_f32 v[6:7], v[6:7], s[78:79], v[8:9]              // 000000007024: D3B04006 1C209D06
	v_pk_mul_f32 v[4:5], v[4:5], v[68:69]                      // 00000000702C: D3B14004 18028904
	v_pk_mul_f32 v[6:7], v[6:7], v[70:71]                      // 000000007034: D3B14006 18028D06
	v_pk_mul_f32 v[4:5], v[4:5], s[60:61]                      // 00000000703C: D3B14004 18007904
	v_pk_mul_f32 v[6:7], v[6:7], s[60:61]                      // 000000007044: D3B14006 18007906
	v_exp_f32_e32 v4, v4                                       // 00000000704C: 7E084104
	v_exp_f32_e32 v5, v5                                       // 000000007050: 7E0A4105
	v_exp_f32_e32 v6, v6                                       // 000000007054: 7E0C4106
	v_exp_f32_e32 v7, v7                                       // 000000007058: 7E0E4107
	v_add_f32_e64 v4, v4, 1.0                                  // 00000000705C: D1010004 0001E504
	v_add_f32_e64 v5, v5, 1.0                                  // 000000007064: D1010005 0001E505
	v_add_f32_e64 v6, v6, 1.0                                  // 00000000706C: D1010006 0001E506
	v_add_f32_e64 v7, v7, 1.0                                  // 000000007074: D1010007 0001E507
	v_rcp_f32_e32 v4, v4                                       // 00000000707C: 7E084504
	v_rcp_f32_e32 v5, v5                                       // 000000007080: 7E0A4505
	v_rcp_f32_e32 v6, v6                                       // 000000007084: 7E0C4506
	v_rcp_f32_e32 v7, v7                                       // 000000007088: 7E0E4507
	v_mul_f32_e32 v68, v68, v4                                 // 00000000708C: 0A880944
	v_mul_f32_e32 v69, v69, v5                                 // 000000007090: 0A8A0B45
	v_mul_f32_e32 v70, v70, v6                                 // 000000007094: 0A8C0D46
	v_mul_f32_e32 v71, v71, v7                                 // 000000007098: 0A8E0F47
	v_mul_f32_e32 v68, v68, v164                               // 00000000709C: 0A894944
	v_mul_f32_e32 v69, v69, v165                               // 0000000070A0: 0A8B4B45
	v_mul_f32_e32 v70, v70, v166                               // 0000000070A4: 0A8D4D46
	v_mul_f32_e32 v71, v71, v167                               // 0000000070A8: 0A8F4F47
	v_pk_mul_f32 v[4:5], v[72:73], v[72:73]                    // 0000000070AC: D3B14004 18029148
	v_pk_mul_f32 v[6:7], v[74:75], v[74:75]                    // 0000000070B4: D3B14006 1802954A
	v_pk_fma_f32 v[4:5], v[4:5], s[78:79], v[8:9]              // 0000000070BC: D3B04004 1C209D04
	v_pk_fma_f32 v[6:7], v[6:7], s[78:79], v[8:9]              // 0000000070C4: D3B04006 1C209D06
	v_pk_mul_f32 v[4:5], v[4:5], v[72:73]                      // 0000000070CC: D3B14004 18029104
	v_pk_mul_f32 v[6:7], v[6:7], v[74:75]                      // 0000000070D4: D3B14006 18029506
	v_pk_mul_f32 v[4:5], v[4:5], s[60:61]                      // 0000000070DC: D3B14004 18007904
	v_pk_mul_f32 v[6:7], v[6:7], s[60:61]                      // 0000000070E4: D3B14006 18007906
	v_exp_f32_e32 v4, v4                                       // 0000000070EC: 7E084104
	v_exp_f32_e32 v5, v5                                       // 0000000070F0: 7E0A4105
	v_exp_f32_e32 v6, v6                                       // 0000000070F4: 7E0C4106
	v_exp_f32_e32 v7, v7                                       // 0000000070F8: 7E0E4107
	v_add_f32_e64 v4, v4, 1.0                                  // 0000000070FC: D1010004 0001E504
	v_add_f32_e64 v5, v5, 1.0                                  // 000000007104: D1010005 0001E505
	v_add_f32_e64 v6, v6, 1.0                                  // 00000000710C: D1010006 0001E506
	v_add_f32_e64 v7, v7, 1.0                                  // 000000007114: D1010007 0001E507
	v_rcp_f32_e32 v4, v4                                       // 00000000711C: 7E084504
	v_rcp_f32_e32 v5, v5                                       // 000000007120: 7E0A4505
	v_rcp_f32_e32 v6, v6                                       // 000000007124: 7E0C4506
	v_rcp_f32_e32 v7, v7                                       // 000000007128: 7E0E4507
	v_mul_f32_e32 v72, v72, v4                                 // 00000000712C: 0A900948
	v_mul_f32_e32 v73, v73, v5                                 // 000000007130: 0A920B49
	v_mul_f32_e32 v74, v74, v6                                 // 000000007134: 0A940D4A
	v_mul_f32_e32 v75, v75, v7                                 // 000000007138: 0A960F4B
	v_mul_f32_e32 v72, v72, v168                               // 00000000713C: 0A915148
	v_mul_f32_e32 v73, v73, v169                               // 000000007140: 0A935349
	v_mul_f32_e32 v74, v74, v170                               // 000000007144: 0A95554A
	v_mul_f32_e32 v75, v75, v171                               // 000000007148: 0A97574B
	v_pk_mul_f32 v[4:5], v[76:77], v[76:77]                    // 00000000714C: D3B14004 1802994C
	v_pk_mul_f32 v[6:7], v[78:79], v[78:79]                    // 000000007154: D3B14006 18029D4E
	v_pk_fma_f32 v[4:5], v[4:5], s[78:79], v[8:9]              // 00000000715C: D3B04004 1C209D04
	v_pk_fma_f32 v[6:7], v[6:7], s[78:79], v[8:9]              // 000000007164: D3B04006 1C209D06
	v_pk_mul_f32 v[4:5], v[4:5], v[76:77]                      // 00000000716C: D3B14004 18029904
	v_pk_mul_f32 v[6:7], v[6:7], v[78:79]                      // 000000007174: D3B14006 18029D06
	v_pk_mul_f32 v[4:5], v[4:5], s[60:61]                      // 00000000717C: D3B14004 18007904
	v_pk_mul_f32 v[6:7], v[6:7], s[60:61]                      // 000000007184: D3B14006 18007906
	v_exp_f32_e32 v4, v4                                       // 00000000718C: 7E084104
	v_exp_f32_e32 v5, v5                                       // 000000007190: 7E0A4105
	v_exp_f32_e32 v6, v6                                       // 000000007194: 7E0C4106
	v_exp_f32_e32 v7, v7                                       // 000000007198: 7E0E4107
	v_add_f32_e64 v4, v4, 1.0                                  // 00000000719C: D1010004 0001E504
	v_add_f32_e64 v5, v5, 1.0                                  // 0000000071A4: D1010005 0001E505
	v_add_f32_e64 v6, v6, 1.0                                  // 0000000071AC: D1010006 0001E506
	v_add_f32_e64 v7, v7, 1.0                                  // 0000000071B4: D1010007 0001E507
	v_rcp_f32_e32 v4, v4                                       // 0000000071BC: 7E084504
	v_rcp_f32_e32 v5, v5                                       // 0000000071C0: 7E0A4505
	v_rcp_f32_e32 v6, v6                                       // 0000000071C4: 7E0C4506
	v_rcp_f32_e32 v7, v7                                       // 0000000071C8: 7E0E4507
	v_mul_f32_e32 v76, v76, v4                                 // 0000000071CC: 0A98094C
	v_mul_f32_e32 v77, v77, v5                                 // 0000000071D0: 0A9A0B4D
	v_mul_f32_e32 v78, v78, v6                                 // 0000000071D4: 0A9C0D4E
	v_mul_f32_e32 v79, v79, v7                                 // 0000000071D8: 0A9E0F4F
	v_mul_f32_e32 v76, v76, v172                               // 0000000071DC: 0A99594C
	v_mul_f32_e32 v77, v77, v173                               // 0000000071E0: 0A9B5B4D
	v_mul_f32_e32 v78, v78, v174                               // 0000000071E4: 0A9D5D4E
	v_mul_f32_e32 v79, v79, v175                               // 0000000071E8: 0A9F5F4F
	v_pk_mul_f32 v[4:5], v[80:81], v[80:81]                    // 0000000071EC: D3B14004 1802A150
	v_pk_mul_f32 v[6:7], v[82:83], v[82:83]                    // 0000000071F4: D3B14006 1802A552
	v_pk_fma_f32 v[4:5], v[4:5], s[78:79], v[8:9]              // 0000000071FC: D3B04004 1C209D04
	v_pk_fma_f32 v[6:7], v[6:7], s[78:79], v[8:9]              // 000000007204: D3B04006 1C209D06
	v_pk_mul_f32 v[4:5], v[4:5], v[80:81]                      // 00000000720C: D3B14004 1802A104
	v_pk_mul_f32 v[6:7], v[6:7], v[82:83]                      // 000000007214: D3B14006 1802A506
	v_pk_mul_f32 v[4:5], v[4:5], s[60:61]                      // 00000000721C: D3B14004 18007904
	v_pk_mul_f32 v[6:7], v[6:7], s[60:61]                      // 000000007224: D3B14006 18007906
	v_exp_f32_e32 v4, v4                                       // 00000000722C: 7E084104
	v_exp_f32_e32 v5, v5                                       // 000000007230: 7E0A4105
	v_exp_f32_e32 v6, v6                                       // 000000007234: 7E0C4106
	v_exp_f32_e32 v7, v7                                       // 000000007238: 7E0E4107
	v_add_f32_e64 v4, v4, 1.0                                  // 00000000723C: D1010004 0001E504
	v_add_f32_e64 v5, v5, 1.0                                  // 000000007244: D1010005 0001E505
	v_add_f32_e64 v6, v6, 1.0                                  // 00000000724C: D1010006 0001E506
	v_add_f32_e64 v7, v7, 1.0                                  // 000000007254: D1010007 0001E507
	v_rcp_f32_e32 v4, v4                                       // 00000000725C: 7E084504
	v_rcp_f32_e32 v5, v5                                       // 000000007260: 7E0A4505
	v_rcp_f32_e32 v6, v6                                       // 000000007264: 7E0C4506
	v_rcp_f32_e32 v7, v7                                       // 000000007268: 7E0E4507
	v_mul_f32_e32 v80, v80, v4                                 // 00000000726C: 0AA00950
	v_mul_f32_e32 v81, v81, v5                                 // 000000007270: 0AA20B51
	v_mul_f32_e32 v82, v82, v6                                 // 000000007274: 0AA40D52
	v_mul_f32_e32 v83, v83, v7                                 // 000000007278: 0AA60F53
	v_mul_f32_e32 v80, v80, v176                               // 00000000727C: 0AA16150
	v_mul_f32_e32 v81, v81, v177                               // 000000007280: 0AA36351
	v_mul_f32_e32 v82, v82, v178                               // 000000007284: 0AA56552
	v_mul_f32_e32 v83, v83, v179                               // 000000007288: 0AA76753
	v_pk_mul_f32 v[4:5], v[84:85], v[84:85]                    // 00000000728C: D3B14004 1802A954
	v_pk_mul_f32 v[6:7], v[86:87], v[86:87]                    // 000000007294: D3B14006 1802AD56
	v_pk_fma_f32 v[4:5], v[4:5], s[78:79], v[8:9]              // 00000000729C: D3B04004 1C209D04
	v_pk_fma_f32 v[6:7], v[6:7], s[78:79], v[8:9]              // 0000000072A4: D3B04006 1C209D06
	v_pk_mul_f32 v[4:5], v[4:5], v[84:85]                      // 0000000072AC: D3B14004 1802A904
	v_pk_mul_f32 v[6:7], v[6:7], v[86:87]                      // 0000000072B4: D3B14006 1802AD06
	v_pk_mul_f32 v[4:5], v[4:5], s[60:61]                      // 0000000072BC: D3B14004 18007904
	v_pk_mul_f32 v[6:7], v[6:7], s[60:61]                      // 0000000072C4: D3B14006 18007906
	v_exp_f32_e32 v4, v4                                       // 0000000072CC: 7E084104
	v_exp_f32_e32 v5, v5                                       // 0000000072D0: 7E0A4105
	v_exp_f32_e32 v6, v6                                       // 0000000072D4: 7E0C4106
	v_exp_f32_e32 v7, v7                                       // 0000000072D8: 7E0E4107
	v_add_f32_e64 v4, v4, 1.0                                  // 0000000072DC: D1010004 0001E504
	v_add_f32_e64 v5, v5, 1.0                                  // 0000000072E4: D1010005 0001E505
	v_add_f32_e64 v6, v6, 1.0                                  // 0000000072EC: D1010006 0001E506
	v_add_f32_e64 v7, v7, 1.0                                  // 0000000072F4: D1010007 0001E507
	v_rcp_f32_e32 v4, v4                                       // 0000000072FC: 7E084504
	v_rcp_f32_e32 v5, v5                                       // 000000007300: 7E0A4505
	v_rcp_f32_e32 v6, v6                                       // 000000007304: 7E0C4506
	v_rcp_f32_e32 v7, v7                                       // 000000007308: 7E0E4507
	v_mul_f32_e32 v84, v84, v4                                 // 00000000730C: 0AA80954
	v_mul_f32_e32 v85, v85, v5                                 // 000000007310: 0AAA0B55
	v_mul_f32_e32 v86, v86, v6                                 // 000000007314: 0AAC0D56
	v_mul_f32_e32 v87, v87, v7                                 // 000000007318: 0AAE0F57
	v_mul_f32_e32 v84, v84, v180                               // 00000000731C: 0AA96954
	v_mul_f32_e32 v85, v85, v181                               // 000000007320: 0AAB6B55
	v_mul_f32_e32 v86, v86, v182                               // 000000007324: 0AAD6D56
	v_mul_f32_e32 v87, v87, v183                               // 000000007328: 0AAF6F57
	v_pk_mul_f32 v[4:5], v[88:89], v[88:89]                    // 00000000732C: D3B14004 1802B158
	v_pk_mul_f32 v[6:7], v[90:91], v[90:91]                    // 000000007334: D3B14006 1802B55A
	v_pk_fma_f32 v[4:5], v[4:5], s[78:79], v[8:9]              // 00000000733C: D3B04004 1C209D04
	v_pk_fma_f32 v[6:7], v[6:7], s[78:79], v[8:9]              // 000000007344: D3B04006 1C209D06
	v_pk_mul_f32 v[4:5], v[4:5], v[88:89]                      // 00000000734C: D3B14004 1802B104
	v_pk_mul_f32 v[6:7], v[6:7], v[90:91]                      // 000000007354: D3B14006 1802B506
	v_pk_mul_f32 v[4:5], v[4:5], s[60:61]                      // 00000000735C: D3B14004 18007904
	v_pk_mul_f32 v[6:7], v[6:7], s[60:61]                      // 000000007364: D3B14006 18007906
	v_exp_f32_e32 v4, v4                                       // 00000000736C: 7E084104
	v_exp_f32_e32 v5, v5                                       // 000000007370: 7E0A4105
	v_exp_f32_e32 v6, v6                                       // 000000007374: 7E0C4106
	v_exp_f32_e32 v7, v7                                       // 000000007378: 7E0E4107
	v_add_f32_e64 v4, v4, 1.0                                  // 00000000737C: D1010004 0001E504
	v_add_f32_e64 v5, v5, 1.0                                  // 000000007384: D1010005 0001E505
	v_add_f32_e64 v6, v6, 1.0                                  // 00000000738C: D1010006 0001E506
	v_add_f32_e64 v7, v7, 1.0                                  // 000000007394: D1010007 0001E507
	v_rcp_f32_e32 v4, v4                                       // 00000000739C: 7E084504
	v_rcp_f32_e32 v5, v5                                       // 0000000073A0: 7E0A4505
	v_rcp_f32_e32 v6, v6                                       // 0000000073A4: 7E0C4506
	v_rcp_f32_e32 v7, v7                                       // 0000000073A8: 7E0E4507
	v_mul_f32_e32 v88, v88, v4                                 // 0000000073AC: 0AB00958
	v_mul_f32_e32 v89, v89, v5                                 // 0000000073B0: 0AB20B59
	v_mul_f32_e32 v90, v90, v6                                 // 0000000073B4: 0AB40D5A
	v_mul_f32_e32 v91, v91, v7                                 // 0000000073B8: 0AB60F5B
	v_mul_f32_e32 v88, v88, v184                               // 0000000073BC: 0AB17158
	v_mul_f32_e32 v89, v89, v185                               // 0000000073C0: 0AB37359
	v_mul_f32_e32 v90, v90, v186                               // 0000000073C4: 0AB5755A
	v_mul_f32_e32 v91, v91, v187                               // 0000000073C8: 0AB7775B
	v_pk_mul_f32 v[4:5], v[92:93], v[92:93]                    // 0000000073CC: D3B14004 1802B95C
	v_pk_mul_f32 v[6:7], v[94:95], v[94:95]                    // 0000000073D4: D3B14006 1802BD5E
	v_pk_fma_f32 v[4:5], v[4:5], s[78:79], v[8:9]              // 0000000073DC: D3B04004 1C209D04
	v_pk_fma_f32 v[6:7], v[6:7], s[78:79], v[8:9]              // 0000000073E4: D3B04006 1C209D06
	v_pk_mul_f32 v[4:5], v[4:5], v[92:93]                      // 0000000073EC: D3B14004 1802B904
	v_pk_mul_f32 v[6:7], v[6:7], v[94:95]                      // 0000000073F4: D3B14006 1802BD06
	v_pk_mul_f32 v[4:5], v[4:5], s[60:61]                      // 0000000073FC: D3B14004 18007904
	v_pk_mul_f32 v[6:7], v[6:7], s[60:61]                      // 000000007404: D3B14006 18007906
	v_exp_f32_e32 v4, v4                                       // 00000000740C: 7E084104
	v_exp_f32_e32 v5, v5                                       // 000000007410: 7E0A4105
	v_exp_f32_e32 v6, v6                                       // 000000007414: 7E0C4106
	v_exp_f32_e32 v7, v7                                       // 000000007418: 7E0E4107
	v_add_f32_e64 v4, v4, 1.0                                  // 00000000741C: D1010004 0001E504
	v_add_f32_e64 v5, v5, 1.0                                  // 000000007424: D1010005 0001E505
	v_add_f32_e64 v6, v6, 1.0                                  // 00000000742C: D1010006 0001E506
	v_add_f32_e64 v7, v7, 1.0                                  // 000000007434: D1010007 0001E507
	v_rcp_f32_e32 v4, v4                                       // 00000000743C: 7E084504
	v_rcp_f32_e32 v5, v5                                       // 000000007440: 7E0A4505
	v_rcp_f32_e32 v6, v6                                       // 000000007444: 7E0C4506
	v_rcp_f32_e32 v7, v7                                       // 000000007448: 7E0E4507
	v_mul_f32_e32 v92, v92, v4                                 // 00000000744C: 0AB8095C
	v_mul_f32_e32 v93, v93, v5                                 // 000000007450: 0ABA0B5D
	v_mul_f32_e32 v94, v94, v6                                 // 000000007454: 0ABC0D5E
	v_mul_f32_e32 v95, v95, v7                                 // 000000007458: 0ABE0F5F
	v_mul_f32_e32 v92, v92, v188                               // 00000000745C: 0AB9795C
	v_mul_f32_e32 v93, v93, v189                               // 000000007460: 0ABB7B5D
	v_mul_f32_e32 v94, v94, v190                               // 000000007464: 0ABD7D5E
	v_mul_f32_e32 v95, v95, v191                               // 000000007468: 0ABF7F5F
	v_pk_mul_f32 v[4:5], v[96:97], v[96:97]                    // 00000000746C: D3B14004 1802C160
	v_pk_mul_f32 v[6:7], v[98:99], v[98:99]                    // 000000007474: D3B14006 1802C562
	v_pk_fma_f32 v[4:5], v[4:5], s[78:79], v[8:9]              // 00000000747C: D3B04004 1C209D04
	v_pk_fma_f32 v[6:7], v[6:7], s[78:79], v[8:9]              // 000000007484: D3B04006 1C209D06
	v_pk_mul_f32 v[4:5], v[4:5], v[96:97]                      // 00000000748C: D3B14004 1802C104
	v_pk_mul_f32 v[6:7], v[6:7], v[98:99]                      // 000000007494: D3B14006 1802C506
	v_pk_mul_f32 v[4:5], v[4:5], s[60:61]                      // 00000000749C: D3B14004 18007904
	v_pk_mul_f32 v[6:7], v[6:7], s[60:61]                      // 0000000074A4: D3B14006 18007906
	v_exp_f32_e32 v4, v4                                       // 0000000074AC: 7E084104
	v_exp_f32_e32 v5, v5                                       // 0000000074B0: 7E0A4105
	v_exp_f32_e32 v6, v6                                       // 0000000074B4: 7E0C4106
	v_exp_f32_e32 v7, v7                                       // 0000000074B8: 7E0E4107
	v_add_f32_e64 v4, v4, 1.0                                  // 0000000074BC: D1010004 0001E504
	v_add_f32_e64 v5, v5, 1.0                                  // 0000000074C4: D1010005 0001E505
	v_add_f32_e64 v6, v6, 1.0                                  // 0000000074CC: D1010006 0001E506
	v_add_f32_e64 v7, v7, 1.0                                  // 0000000074D4: D1010007 0001E507
	v_rcp_f32_e32 v4, v4                                       // 0000000074DC: 7E084504
	v_rcp_f32_e32 v5, v5                                       // 0000000074E0: 7E0A4505
	v_rcp_f32_e32 v6, v6                                       // 0000000074E4: 7E0C4506
	v_rcp_f32_e32 v7, v7                                       // 0000000074E8: 7E0E4507
	v_mul_f32_e32 v96, v96, v4                                 // 0000000074EC: 0AC00960
	v_mul_f32_e32 v97, v97, v5                                 // 0000000074F0: 0AC20B61
	v_mul_f32_e32 v98, v98, v6                                 // 0000000074F4: 0AC40D62
	v_mul_f32_e32 v99, v99, v7                                 // 0000000074F8: 0AC60F63
	v_mul_f32_e32 v96, v96, v192                               // 0000000074FC: 0AC18160
	v_mul_f32_e32 v97, v97, v193                               // 000000007500: 0AC38361
	v_mul_f32_e32 v98, v98, v194                               // 000000007504: 0AC58562
	v_mul_f32_e32 v99, v99, v195                               // 000000007508: 0AC78763
	v_pk_mul_f32 v[4:5], v[100:101], v[100:101]                // 00000000750C: D3B14004 1802C964
	v_pk_mul_f32 v[6:7], v[102:103], v[102:103]                // 000000007514: D3B14006 1802CD66
	v_pk_fma_f32 v[4:5], v[4:5], s[78:79], v[8:9]              // 00000000751C: D3B04004 1C209D04
	v_pk_fma_f32 v[6:7], v[6:7], s[78:79], v[8:9]              // 000000007524: D3B04006 1C209D06
	v_pk_mul_f32 v[4:5], v[4:5], v[100:101]                    // 00000000752C: D3B14004 1802C904
	v_pk_mul_f32 v[6:7], v[6:7], v[102:103]                    // 000000007534: D3B14006 1802CD06
	v_pk_mul_f32 v[4:5], v[4:5], s[60:61]                      // 00000000753C: D3B14004 18007904
	v_pk_mul_f32 v[6:7], v[6:7], s[60:61]                      // 000000007544: D3B14006 18007906
	v_exp_f32_e32 v4, v4                                       // 00000000754C: 7E084104
	v_exp_f32_e32 v5, v5                                       // 000000007550: 7E0A4105
	v_exp_f32_e32 v6, v6                                       // 000000007554: 7E0C4106
	v_exp_f32_e32 v7, v7                                       // 000000007558: 7E0E4107
	v_add_f32_e64 v4, v4, 1.0                                  // 00000000755C: D1010004 0001E504
	v_add_f32_e64 v5, v5, 1.0                                  // 000000007564: D1010005 0001E505
	v_add_f32_e64 v6, v6, 1.0                                  // 00000000756C: D1010006 0001E506
	v_add_f32_e64 v7, v7, 1.0                                  // 000000007574: D1010007 0001E507
	v_rcp_f32_e32 v4, v4                                       // 00000000757C: 7E084504
	v_rcp_f32_e32 v5, v5                                       // 000000007580: 7E0A4505
	v_rcp_f32_e32 v6, v6                                       // 000000007584: 7E0C4506
	v_rcp_f32_e32 v7, v7                                       // 000000007588: 7E0E4507
	v_mul_f32_e32 v100, v100, v4                               // 00000000758C: 0AC80964
	v_mul_f32_e32 v101, v101, v5                               // 000000007590: 0ACA0B65
	v_mul_f32_e32 v102, v102, v6                               // 000000007594: 0ACC0D66
	v_mul_f32_e32 v103, v103, v7                               // 000000007598: 0ACE0F67
	v_mul_f32_e32 v100, v100, v196                             // 00000000759C: 0AC98964
	v_mul_f32_e32 v101, v101, v197                             // 0000000075A0: 0ACB8B65
	v_mul_f32_e32 v102, v102, v198                             // 0000000075A4: 0ACD8D66
	v_mul_f32_e32 v103, v103, v199                             // 0000000075A8: 0ACF8F67
	v_pk_mul_f32 v[4:5], v[104:105], v[104:105]                // 0000000075AC: D3B14004 1802D168
	v_pk_mul_f32 v[6:7], v[106:107], v[106:107]                // 0000000075B4: D3B14006 1802D56A
	v_pk_fma_f32 v[4:5], v[4:5], s[78:79], v[8:9]              // 0000000075BC: D3B04004 1C209D04
	v_pk_fma_f32 v[6:7], v[6:7], s[78:79], v[8:9]              // 0000000075C4: D3B04006 1C209D06
	v_pk_mul_f32 v[4:5], v[4:5], v[104:105]                    // 0000000075CC: D3B14004 1802D104
	v_pk_mul_f32 v[6:7], v[6:7], v[106:107]                    // 0000000075D4: D3B14006 1802D506
	v_pk_mul_f32 v[4:5], v[4:5], s[60:61]                      // 0000000075DC: D3B14004 18007904
	v_pk_mul_f32 v[6:7], v[6:7], s[60:61]                      // 0000000075E4: D3B14006 18007906
	v_exp_f32_e32 v4, v4                                       // 0000000075EC: 7E084104
	v_exp_f32_e32 v5, v5                                       // 0000000075F0: 7E0A4105
	v_exp_f32_e32 v6, v6                                       // 0000000075F4: 7E0C4106
	v_exp_f32_e32 v7, v7                                       // 0000000075F8: 7E0E4107
	v_add_f32_e64 v4, v4, 1.0                                  // 0000000075FC: D1010004 0001E504
	v_add_f32_e64 v5, v5, 1.0                                  // 000000007604: D1010005 0001E505
	v_add_f32_e64 v6, v6, 1.0                                  // 00000000760C: D1010006 0001E506
	v_add_f32_e64 v7, v7, 1.0                                  // 000000007614: D1010007 0001E507
	v_rcp_f32_e32 v4, v4                                       // 00000000761C: 7E084504
	v_rcp_f32_e32 v5, v5                                       // 000000007620: 7E0A4505
	v_rcp_f32_e32 v6, v6                                       // 000000007624: 7E0C4506
	v_rcp_f32_e32 v7, v7                                       // 000000007628: 7E0E4507
	v_mul_f32_e32 v104, v104, v4                               // 00000000762C: 0AD00968
	v_mul_f32_e32 v105, v105, v5                               // 000000007630: 0AD20B69
	v_mul_f32_e32 v106, v106, v6                               // 000000007634: 0AD40D6A
	v_mul_f32_e32 v107, v107, v7                               // 000000007638: 0AD60F6B
	v_mul_f32_e32 v104, v104, v200                             // 00000000763C: 0AD19168
	v_mul_f32_e32 v105, v105, v201                             // 000000007640: 0AD39369
	v_mul_f32_e32 v106, v106, v202                             // 000000007644: 0AD5956A
	v_mul_f32_e32 v107, v107, v203                             // 000000007648: 0AD7976B
	v_pk_mul_f32 v[4:5], v[108:109], v[108:109]                // 00000000764C: D3B14004 1802D96C
	v_pk_mul_f32 v[6:7], v[110:111], v[110:111]                // 000000007654: D3B14006 1802DD6E
	v_pk_fma_f32 v[4:5], v[4:5], s[78:79], v[8:9]              // 00000000765C: D3B04004 1C209D04
	v_pk_fma_f32 v[6:7], v[6:7], s[78:79], v[8:9]              // 000000007664: D3B04006 1C209D06
	v_pk_mul_f32 v[4:5], v[4:5], v[108:109]                    // 00000000766C: D3B14004 1802D904
	v_pk_mul_f32 v[6:7], v[6:7], v[110:111]                    // 000000007674: D3B14006 1802DD06
	v_pk_mul_f32 v[4:5], v[4:5], s[60:61]                      // 00000000767C: D3B14004 18007904
	v_pk_mul_f32 v[6:7], v[6:7], s[60:61]                      // 000000007684: D3B14006 18007906
	v_exp_f32_e32 v4, v4                                       // 00000000768C: 7E084104
	v_exp_f32_e32 v5, v5                                       // 000000007690: 7E0A4105
	v_exp_f32_e32 v6, v6                                       // 000000007694: 7E0C4106
	v_exp_f32_e32 v7, v7                                       // 000000007698: 7E0E4107
	v_add_f32_e64 v4, v4, 1.0                                  // 00000000769C: D1010004 0001E504
	v_add_f32_e64 v5, v5, 1.0                                  // 0000000076A4: D1010005 0001E505
	v_add_f32_e64 v6, v6, 1.0                                  // 0000000076AC: D1010006 0001E506
	v_add_f32_e64 v7, v7, 1.0                                  // 0000000076B4: D1010007 0001E507
	v_rcp_f32_e32 v4, v4                                       // 0000000076BC: 7E084504
	v_rcp_f32_e32 v5, v5                                       // 0000000076C0: 7E0A4505
	v_rcp_f32_e32 v6, v6                                       // 0000000076C4: 7E0C4506
	v_rcp_f32_e32 v7, v7                                       // 0000000076C8: 7E0E4507
	v_mul_f32_e32 v108, v108, v4                               // 0000000076CC: 0AD8096C
	v_mul_f32_e32 v109, v109, v5                               // 0000000076D0: 0ADA0B6D
	v_mul_f32_e32 v110, v110, v6                               // 0000000076D4: 0ADC0D6E
	v_mul_f32_e32 v111, v111, v7                               // 0000000076D8: 0ADE0F6F
	v_mul_f32_e32 v108, v108, v204                             // 0000000076DC: 0AD9996C
	v_mul_f32_e32 v109, v109, v205                             // 0000000076E0: 0ADB9B6D
	v_mul_f32_e32 v110, v110, v206                             // 0000000076E4: 0ADD9D6E
	v_mul_f32_e32 v111, v111, v207                             // 0000000076E8: 0ADF9F6F
	v_pk_mul_f32 v[4:5], v[112:113], v[112:113]                // 0000000076EC: D3B14004 1802E170
	v_pk_mul_f32 v[6:7], v[114:115], v[114:115]                // 0000000076F4: D3B14006 1802E572
	v_pk_fma_f32 v[4:5], v[4:5], s[78:79], v[8:9]              // 0000000076FC: D3B04004 1C209D04
	v_pk_fma_f32 v[6:7], v[6:7], s[78:79], v[8:9]              // 000000007704: D3B04006 1C209D06
	v_pk_mul_f32 v[4:5], v[4:5], v[112:113]                    // 00000000770C: D3B14004 1802E104
	v_pk_mul_f32 v[6:7], v[6:7], v[114:115]                    // 000000007714: D3B14006 1802E506
	v_pk_mul_f32 v[4:5], v[4:5], s[60:61]                      // 00000000771C: D3B14004 18007904
	v_pk_mul_f32 v[6:7], v[6:7], s[60:61]                      // 000000007724: D3B14006 18007906
	v_exp_f32_e32 v4, v4                                       // 00000000772C: 7E084104
	v_exp_f32_e32 v5, v5                                       // 000000007730: 7E0A4105
	v_exp_f32_e32 v6, v6                                       // 000000007734: 7E0C4106
	v_exp_f32_e32 v7, v7                                       // 000000007738: 7E0E4107
	v_add_f32_e64 v4, v4, 1.0                                  // 00000000773C: D1010004 0001E504
	v_add_f32_e64 v5, v5, 1.0                                  // 000000007744: D1010005 0001E505
	v_add_f32_e64 v6, v6, 1.0                                  // 00000000774C: D1010006 0001E506
	v_add_f32_e64 v7, v7, 1.0                                  // 000000007754: D1010007 0001E507
	v_rcp_f32_e32 v4, v4                                       // 00000000775C: 7E084504
	v_rcp_f32_e32 v5, v5                                       // 000000007760: 7E0A4505
	v_rcp_f32_e32 v6, v6                                       // 000000007764: 7E0C4506
	v_rcp_f32_e32 v7, v7                                       // 000000007768: 7E0E4507
	v_mul_f32_e32 v112, v112, v4                               // 00000000776C: 0AE00970
	v_mul_f32_e32 v113, v113, v5                               // 000000007770: 0AE20B71
	v_mul_f32_e32 v114, v114, v6                               // 000000007774: 0AE40D72
	v_mul_f32_e32 v115, v115, v7                               // 000000007778: 0AE60F73
	v_mul_f32_e32 v112, v112, v208                             // 00000000777C: 0AE1A170
	v_mul_f32_e32 v113, v113, v209                             // 000000007780: 0AE3A371
	v_mul_f32_e32 v114, v114, v210                             // 000000007784: 0AE5A572
	v_mul_f32_e32 v115, v115, v211                             // 000000007788: 0AE7A773
	v_pk_mul_f32 v[4:5], v[116:117], v[116:117]                // 00000000778C: D3B14004 1802E974
	v_pk_mul_f32 v[6:7], v[118:119], v[118:119]                // 000000007794: D3B14006 1802ED76
	v_pk_fma_f32 v[4:5], v[4:5], s[78:79], v[8:9]              // 00000000779C: D3B04004 1C209D04
	v_pk_fma_f32 v[6:7], v[6:7], s[78:79], v[8:9]              // 0000000077A4: D3B04006 1C209D06
	v_pk_mul_f32 v[4:5], v[4:5], v[116:117]                    // 0000000077AC: D3B14004 1802E904
	v_pk_mul_f32 v[6:7], v[6:7], v[118:119]                    // 0000000077B4: D3B14006 1802ED06
	v_pk_mul_f32 v[4:5], v[4:5], s[60:61]                      // 0000000077BC: D3B14004 18007904
	v_pk_mul_f32 v[6:7], v[6:7], s[60:61]                      // 0000000077C4: D3B14006 18007906
	v_exp_f32_e32 v4, v4                                       // 0000000077CC: 7E084104
	v_exp_f32_e32 v5, v5                                       // 0000000077D0: 7E0A4105
	v_exp_f32_e32 v6, v6                                       // 0000000077D4: 7E0C4106
	v_exp_f32_e32 v7, v7                                       // 0000000077D8: 7E0E4107
	v_add_f32_e64 v4, v4, 1.0                                  // 0000000077DC: D1010004 0001E504
	v_add_f32_e64 v5, v5, 1.0                                  // 0000000077E4: D1010005 0001E505
	v_add_f32_e64 v6, v6, 1.0                                  // 0000000077EC: D1010006 0001E506
	v_add_f32_e64 v7, v7, 1.0                                  // 0000000077F4: D1010007 0001E507
	v_rcp_f32_e32 v4, v4                                       // 0000000077FC: 7E084504
	v_rcp_f32_e32 v5, v5                                       // 000000007800: 7E0A4505
	v_rcp_f32_e32 v6, v6                                       // 000000007804: 7E0C4506
	v_rcp_f32_e32 v7, v7                                       // 000000007808: 7E0E4507
	v_mul_f32_e32 v116, v116, v4                               // 00000000780C: 0AE80974
	v_mul_f32_e32 v117, v117, v5                               // 000000007810: 0AEA0B75
	v_mul_f32_e32 v118, v118, v6                               // 000000007814: 0AEC0D76
	v_mul_f32_e32 v119, v119, v7                               // 000000007818: 0AEE0F77
	v_mul_f32_e32 v116, v116, v212                             // 00000000781C: 0AE9A974
	v_mul_f32_e32 v117, v117, v213                             // 000000007820: 0AEBAB75
	v_mul_f32_e32 v118, v118, v214                             // 000000007824: 0AEDAD76
	v_mul_f32_e32 v119, v119, v215                             // 000000007828: 0AEFAF77
	v_pk_mul_f32 v[4:5], v[120:121], v[120:121]                // 00000000782C: D3B14004 1802F178
	v_pk_mul_f32 v[6:7], v[122:123], v[122:123]                // 000000007834: D3B14006 1802F57A
	v_pk_fma_f32 v[4:5], v[4:5], s[78:79], v[8:9]              // 00000000783C: D3B04004 1C209D04
	v_pk_fma_f32 v[6:7], v[6:7], s[78:79], v[8:9]              // 000000007844: D3B04006 1C209D06
	v_pk_mul_f32 v[4:5], v[4:5], v[120:121]                    // 00000000784C: D3B14004 1802F104
	v_pk_mul_f32 v[6:7], v[6:7], v[122:123]                    // 000000007854: D3B14006 1802F506
	v_pk_mul_f32 v[4:5], v[4:5], s[60:61]                      // 00000000785C: D3B14004 18007904
	v_pk_mul_f32 v[6:7], v[6:7], s[60:61]                      // 000000007864: D3B14006 18007906
	v_exp_f32_e32 v4, v4                                       // 00000000786C: 7E084104
	v_exp_f32_e32 v5, v5                                       // 000000007870: 7E0A4105
	v_exp_f32_e32 v6, v6                                       // 000000007874: 7E0C4106
	v_exp_f32_e32 v7, v7                                       // 000000007878: 7E0E4107
	v_add_f32_e64 v4, v4, 1.0                                  // 00000000787C: D1010004 0001E504
	v_add_f32_e64 v5, v5, 1.0                                  // 000000007884: D1010005 0001E505
	v_add_f32_e64 v6, v6, 1.0                                  // 00000000788C: D1010006 0001E506
	v_add_f32_e64 v7, v7, 1.0                                  // 000000007894: D1010007 0001E507
	v_rcp_f32_e32 v4, v4                                       // 00000000789C: 7E084504
	v_rcp_f32_e32 v5, v5                                       // 0000000078A0: 7E0A4505
	v_rcp_f32_e32 v6, v6                                       // 0000000078A4: 7E0C4506
	v_rcp_f32_e32 v7, v7                                       // 0000000078A8: 7E0E4507
	v_mul_f32_e32 v120, v120, v4                               // 0000000078AC: 0AF00978
	v_mul_f32_e32 v121, v121, v5                               // 0000000078B0: 0AF20B79
	v_mul_f32_e32 v122, v122, v6                               // 0000000078B4: 0AF40D7A
	v_mul_f32_e32 v123, v123, v7                               // 0000000078B8: 0AF60F7B
	v_mul_f32_e32 v120, v120, v216                             // 0000000078BC: 0AF1B178
	v_mul_f32_e32 v121, v121, v217                             // 0000000078C0: 0AF3B379
	v_mul_f32_e32 v122, v122, v218                             // 0000000078C4: 0AF5B57A
	v_mul_f32_e32 v123, v123, v219                             // 0000000078C8: 0AF7B77B
	v_pk_mul_f32 v[4:5], v[124:125], v[124:125]                // 0000000078CC: D3B14004 1802F97C
	v_pk_mul_f32 v[6:7], v[126:127], v[126:127]                // 0000000078D4: D3B14006 1802FD7E
	v_pk_fma_f32 v[4:5], v[4:5], s[78:79], v[8:9]              // 0000000078DC: D3B04004 1C209D04
	v_pk_fma_f32 v[6:7], v[6:7], s[78:79], v[8:9]              // 0000000078E4: D3B04006 1C209D06
	v_pk_mul_f32 v[4:5], v[4:5], v[124:125]                    // 0000000078EC: D3B14004 1802F904
	v_pk_mul_f32 v[6:7], v[6:7], v[126:127]                    // 0000000078F4: D3B14006 1802FD06
	v_pk_mul_f32 v[4:5], v[4:5], s[60:61]                      // 0000000078FC: D3B14004 18007904
	v_pk_mul_f32 v[6:7], v[6:7], s[60:61]                      // 000000007904: D3B14006 18007906
	v_exp_f32_e32 v4, v4                                       // 00000000790C: 7E084104
	v_exp_f32_e32 v5, v5                                       // 000000007910: 7E0A4105
	v_exp_f32_e32 v6, v6                                       // 000000007914: 7E0C4106
	v_exp_f32_e32 v7, v7                                       // 000000007918: 7E0E4107
	v_add_f32_e64 v4, v4, 1.0                                  // 00000000791C: D1010004 0001E504
	v_add_f32_e64 v5, v5, 1.0                                  // 000000007924: D1010005 0001E505
	v_add_f32_e64 v6, v6, 1.0                                  // 00000000792C: D1010006 0001E506
	v_add_f32_e64 v7, v7, 1.0                                  // 000000007934: D1010007 0001E507
	v_rcp_f32_e32 v4, v4                                       // 00000000793C: 7E084504
	v_rcp_f32_e32 v5, v5                                       // 000000007940: 7E0A4505
	v_rcp_f32_e32 v6, v6                                       // 000000007944: 7E0C4506
	v_rcp_f32_e32 v7, v7                                       // 000000007948: 7E0E4507
	v_mul_f32_e32 v124, v124, v4                               // 00000000794C: 0AF8097C
	v_mul_f32_e32 v125, v125, v5                               // 000000007950: 0AFA0B7D
	v_mul_f32_e32 v126, v126, v6                               // 000000007954: 0AFC0D7E
	v_mul_f32_e32 v127, v127, v7                               // 000000007958: 0AFE0F7F
	v_mul_f32_e32 v124, v124, v220                             // 00000000795C: 0AF9B97C
	v_mul_f32_e32 v125, v125, v221                             // 000000007960: 0AFBBB7D
	v_mul_f32_e32 v126, v126, v222                             // 000000007964: 0AFDBD7E
	v_mul_f32_e32 v127, v127, v223                             // 000000007968: 0AFFBF7F
	v_pk_mul_f32 v[4:5], v[128:129], v[128:129]                // 00000000796C: D3B14004 18030180
	v_pk_mul_f32 v[6:7], v[130:131], v[130:131]                // 000000007974: D3B14006 18030582
	v_pk_fma_f32 v[4:5], v[4:5], s[78:79], v[8:9]              // 00000000797C: D3B04004 1C209D04
	v_pk_fma_f32 v[6:7], v[6:7], s[78:79], v[8:9]              // 000000007984: D3B04006 1C209D06
	v_pk_mul_f32 v[4:5], v[4:5], v[128:129]                    // 00000000798C: D3B14004 18030104
	v_pk_mul_f32 v[6:7], v[6:7], v[130:131]                    // 000000007994: D3B14006 18030506
	v_pk_mul_f32 v[4:5], v[4:5], s[60:61]                      // 00000000799C: D3B14004 18007904
	v_pk_mul_f32 v[6:7], v[6:7], s[60:61]                      // 0000000079A4: D3B14006 18007906
	v_exp_f32_e32 v4, v4                                       // 0000000079AC: 7E084104
	v_exp_f32_e32 v5, v5                                       // 0000000079B0: 7E0A4105
	v_exp_f32_e32 v6, v6                                       // 0000000079B4: 7E0C4106
	v_exp_f32_e32 v7, v7                                       // 0000000079B8: 7E0E4107
	v_add_f32_e64 v4, v4, 1.0                                  // 0000000079BC: D1010004 0001E504
	v_add_f32_e64 v5, v5, 1.0                                  // 0000000079C4: D1010005 0001E505
	v_add_f32_e64 v6, v6, 1.0                                  // 0000000079CC: D1010006 0001E506
	v_add_f32_e64 v7, v7, 1.0                                  // 0000000079D4: D1010007 0001E507
	v_rcp_f32_e32 v4, v4                                       // 0000000079DC: 7E084504
	v_rcp_f32_e32 v5, v5                                       // 0000000079E0: 7E0A4505
	v_rcp_f32_e32 v6, v6                                       // 0000000079E4: 7E0C4506
	v_rcp_f32_e32 v7, v7                                       // 0000000079E8: 7E0E4507
	v_mul_f32_e32 v128, v128, v4                               // 0000000079EC: 0B000980
	v_mul_f32_e32 v129, v129, v5                               // 0000000079F0: 0B020B81
	v_mul_f32_e32 v130, v130, v6                               // 0000000079F4: 0B040D82
	v_mul_f32_e32 v131, v131, v7                               // 0000000079F8: 0B060F83
	v_mul_f32_e32 v128, v128, v224                             // 0000000079FC: 0B01C180
	v_mul_f32_e32 v129, v129, v225                             // 000000007A00: 0B03C381
	v_mul_f32_e32 v130, v130, v226                             // 000000007A04: 0B05C582
	v_mul_f32_e32 v131, v131, v227                             // 000000007A08: 0B07C783
	v_pk_mul_f32 v[4:5], v[132:133], v[132:133]                // 000000007A0C: D3B14004 18030984
	v_pk_mul_f32 v[6:7], v[134:135], v[134:135]                // 000000007A14: D3B14006 18030D86
	v_pk_fma_f32 v[4:5], v[4:5], s[78:79], v[8:9]              // 000000007A1C: D3B04004 1C209D04
	v_pk_fma_f32 v[6:7], v[6:7], s[78:79], v[8:9]              // 000000007A24: D3B04006 1C209D06
	v_pk_mul_f32 v[4:5], v[4:5], v[132:133]                    // 000000007A2C: D3B14004 18030904
	v_pk_mul_f32 v[6:7], v[6:7], v[134:135]                    // 000000007A34: D3B14006 18030D06
	v_pk_mul_f32 v[4:5], v[4:5], s[60:61]                      // 000000007A3C: D3B14004 18007904
	v_pk_mul_f32 v[6:7], v[6:7], s[60:61]                      // 000000007A44: D3B14006 18007906
	v_exp_f32_e32 v4, v4                                       // 000000007A4C: 7E084104
	v_exp_f32_e32 v5, v5                                       // 000000007A50: 7E0A4105
	v_exp_f32_e32 v6, v6                                       // 000000007A54: 7E0C4106
	v_exp_f32_e32 v7, v7                                       // 000000007A58: 7E0E4107
	v_add_f32_e64 v4, v4, 1.0                                  // 000000007A5C: D1010004 0001E504
	v_add_f32_e64 v5, v5, 1.0                                  // 000000007A64: D1010005 0001E505
	v_add_f32_e64 v6, v6, 1.0                                  // 000000007A6C: D1010006 0001E506
	v_add_f32_e64 v7, v7, 1.0                                  // 000000007A74: D1010007 0001E507
	v_rcp_f32_e32 v4, v4                                       // 000000007A7C: 7E084504
	v_rcp_f32_e32 v5, v5                                       // 000000007A80: 7E0A4505
	v_rcp_f32_e32 v6, v6                                       // 000000007A84: 7E0C4506
	v_rcp_f32_e32 v7, v7                                       // 000000007A88: 7E0E4507
	v_mul_f32_e32 v132, v132, v4                               // 000000007A8C: 0B080984
	v_mul_f32_e32 v133, v133, v5                               // 000000007A90: 0B0A0B85
	v_mul_f32_e32 v134, v134, v6                               // 000000007A94: 0B0C0D86
	v_mul_f32_e32 v135, v135, v7                               // 000000007A98: 0B0E0F87
	v_mul_f32_e32 v132, v132, v228                             // 000000007A9C: 0B09C984
	v_mul_f32_e32 v133, v133, v229                             // 000000007AA0: 0B0BCB85
	v_mul_f32_e32 v134, v134, v230                             // 000000007AA4: 0B0DCD86
	v_mul_f32_e32 v135, v135, v231                             // 000000007AA8: 0B0FCF87
	v_pk_mul_f32 v[4:5], v[136:137], v[136:137]                // 000000007AAC: D3B14004 18031188
	v_pk_mul_f32 v[6:7], v[138:139], v[138:139]                // 000000007AB4: D3B14006 1803158A
	v_pk_fma_f32 v[4:5], v[4:5], s[78:79], v[8:9]              // 000000007ABC: D3B04004 1C209D04
	v_pk_fma_f32 v[6:7], v[6:7], s[78:79], v[8:9]              // 000000007AC4: D3B04006 1C209D06
	v_pk_mul_f32 v[4:5], v[4:5], v[136:137]                    // 000000007ACC: D3B14004 18031104
	v_pk_mul_f32 v[6:7], v[6:7], v[138:139]                    // 000000007AD4: D3B14006 18031506
	v_pk_mul_f32 v[4:5], v[4:5], s[60:61]                      // 000000007ADC: D3B14004 18007904
	v_pk_mul_f32 v[6:7], v[6:7], s[60:61]                      // 000000007AE4: D3B14006 18007906
	v_exp_f32_e32 v4, v4                                       // 000000007AEC: 7E084104
	v_exp_f32_e32 v5, v5                                       // 000000007AF0: 7E0A4105
	v_exp_f32_e32 v6, v6                                       // 000000007AF4: 7E0C4106
	v_exp_f32_e32 v7, v7                                       // 000000007AF8: 7E0E4107
	v_add_f32_e64 v4, v4, 1.0                                  // 000000007AFC: D1010004 0001E504
	v_add_f32_e64 v5, v5, 1.0                                  // 000000007B04: D1010005 0001E505
	v_add_f32_e64 v6, v6, 1.0                                  // 000000007B0C: D1010006 0001E506
	v_add_f32_e64 v7, v7, 1.0                                  // 000000007B14: D1010007 0001E507
	v_rcp_f32_e32 v4, v4                                       // 000000007B1C: 7E084504
	v_rcp_f32_e32 v5, v5                                       // 000000007B20: 7E0A4505
	v_rcp_f32_e32 v6, v6                                       // 000000007B24: 7E0C4506
	v_rcp_f32_e32 v7, v7                                       // 000000007B28: 7E0E4507
	v_mul_f32_e32 v136, v136, v4                               // 000000007B2C: 0B100988
	v_mul_f32_e32 v137, v137, v5                               // 000000007B30: 0B120B89
	v_mul_f32_e32 v138, v138, v6                               // 000000007B34: 0B140D8A
	v_mul_f32_e32 v139, v139, v7                               // 000000007B38: 0B160F8B
	v_mul_f32_e32 v136, v136, v232                             // 000000007B3C: 0B11D188
	v_mul_f32_e32 v137, v137, v233                             // 000000007B40: 0B13D389
	v_mul_f32_e32 v138, v138, v234                             // 000000007B44: 0B15D58A
	v_mul_f32_e32 v139, v139, v235                             // 000000007B48: 0B17D78B
	v_pk_mul_f32 v[4:5], v[140:141], v[140:141]                // 000000007B4C: D3B14004 1803198C
	v_pk_mul_f32 v[6:7], v[142:143], v[142:143]                // 000000007B54: D3B14006 18031D8E
	v_pk_fma_f32 v[4:5], v[4:5], s[78:79], v[8:9]              // 000000007B5C: D3B04004 1C209D04
	v_pk_fma_f32 v[6:7], v[6:7], s[78:79], v[8:9]              // 000000007B64: D3B04006 1C209D06
	v_pk_mul_f32 v[4:5], v[4:5], v[140:141]                    // 000000007B6C: D3B14004 18031904
	v_pk_mul_f32 v[6:7], v[6:7], v[142:143]                    // 000000007B74: D3B14006 18031D06
	v_pk_mul_f32 v[4:5], v[4:5], s[60:61]                      // 000000007B7C: D3B14004 18007904
	v_pk_mul_f32 v[6:7], v[6:7], s[60:61]                      // 000000007B84: D3B14006 18007906
	v_exp_f32_e32 v4, v4                                       // 000000007B8C: 7E084104
	v_exp_f32_e32 v5, v5                                       // 000000007B90: 7E0A4105
	v_exp_f32_e32 v6, v6                                       // 000000007B94: 7E0C4106
	v_exp_f32_e32 v7, v7                                       // 000000007B98: 7E0E4107
	v_add_f32_e64 v4, v4, 1.0                                  // 000000007B9C: D1010004 0001E504
	v_add_f32_e64 v5, v5, 1.0                                  // 000000007BA4: D1010005 0001E505
	v_add_f32_e64 v6, v6, 1.0                                  // 000000007BAC: D1010006 0001E506
	v_add_f32_e64 v7, v7, 1.0                                  // 000000007BB4: D1010007 0001E507
	v_rcp_f32_e32 v4, v4                                       // 000000007BBC: 7E084504
	v_rcp_f32_e32 v5, v5                                       // 000000007BC0: 7E0A4505
	v_rcp_f32_e32 v6, v6                                       // 000000007BC4: 7E0C4506
	v_rcp_f32_e32 v7, v7                                       // 000000007BC8: 7E0E4507
	v_mul_f32_e32 v140, v140, v4                               // 000000007BCC: 0B18098C
	v_mul_f32_e32 v141, v141, v5                               // 000000007BD0: 0B1A0B8D
	v_mul_f32_e32 v142, v142, v6                               // 000000007BD4: 0B1C0D8E
	v_mul_f32_e32 v143, v143, v7                               // 000000007BD8: 0B1E0F8F
	v_mul_f32_e32 v140, v140, v236                             // 000000007BDC: 0B19D98C
	v_mul_f32_e32 v141, v141, v237                             // 000000007BE0: 0B1BDB8D
	v_mul_f32_e32 v142, v142, v238                             // 000000007BE4: 0B1DDD8E
	v_mul_f32_e32 v143, v143, v239                             // 000000007BE8: 0B1FDF8F
	v_pk_mul_f32 v[4:5], v[144:145], v[144:145]                // 000000007BEC: D3B14004 18032190
	v_pk_mul_f32 v[6:7], v[146:147], v[146:147]                // 000000007BF4: D3B14006 18032592
	v_pk_fma_f32 v[4:5], v[4:5], s[78:79], v[8:9]              // 000000007BFC: D3B04004 1C209D04
	v_pk_fma_f32 v[6:7], v[6:7], s[78:79], v[8:9]              // 000000007C04: D3B04006 1C209D06
	v_pk_mul_f32 v[4:5], v[4:5], v[144:145]                    // 000000007C0C: D3B14004 18032104
	v_pk_mul_f32 v[6:7], v[6:7], v[146:147]                    // 000000007C14: D3B14006 18032506
	v_pk_mul_f32 v[4:5], v[4:5], s[60:61]                      // 000000007C1C: D3B14004 18007904
	v_pk_mul_f32 v[6:7], v[6:7], s[60:61]                      // 000000007C24: D3B14006 18007906
	v_exp_f32_e32 v4, v4                                       // 000000007C2C: 7E084104
	v_exp_f32_e32 v5, v5                                       // 000000007C30: 7E0A4105
	v_exp_f32_e32 v6, v6                                       // 000000007C34: 7E0C4106
	v_exp_f32_e32 v7, v7                                       // 000000007C38: 7E0E4107
	v_add_f32_e64 v4, v4, 1.0                                  // 000000007C3C: D1010004 0001E504
	v_add_f32_e64 v5, v5, 1.0                                  // 000000007C44: D1010005 0001E505
	v_add_f32_e64 v6, v6, 1.0                                  // 000000007C4C: D1010006 0001E506
	v_add_f32_e64 v7, v7, 1.0                                  // 000000007C54: D1010007 0001E507
	v_rcp_f32_e32 v4, v4                                       // 000000007C5C: 7E084504
	v_rcp_f32_e32 v5, v5                                       // 000000007C60: 7E0A4505
	v_rcp_f32_e32 v6, v6                                       // 000000007C64: 7E0C4506
	v_rcp_f32_e32 v7, v7                                       // 000000007C68: 7E0E4507
	v_mul_f32_e32 v144, v144, v4                               // 000000007C6C: 0B200990
	v_mul_f32_e32 v145, v145, v5                               // 000000007C70: 0B220B91
	v_mul_f32_e32 v146, v146, v6                               // 000000007C74: 0B240D92
	v_mul_f32_e32 v147, v147, v7                               // 000000007C78: 0B260F93
	v_mul_f32_e32 v144, v144, v240                             // 000000007C7C: 0B21E190
	v_mul_f32_e32 v145, v145, v241                             // 000000007C80: 0B23E391
	v_mul_f32_e32 v146, v146, v242                             // 000000007C84: 0B25E592
	v_mul_f32_e32 v147, v147, v243                             // 000000007C88: 0B27E793
	v_pk_mul_f32 v[4:5], v[148:149], v[148:149]                // 000000007C8C: D3B14004 18032994
	v_pk_mul_f32 v[6:7], v[150:151], v[150:151]                // 000000007C94: D3B14006 18032D96
	v_pk_fma_f32 v[4:5], v[4:5], s[78:79], v[8:9]              // 000000007C9C: D3B04004 1C209D04
	v_pk_fma_f32 v[6:7], v[6:7], s[78:79], v[8:9]              // 000000007CA4: D3B04006 1C209D06
	v_pk_mul_f32 v[4:5], v[4:5], v[148:149]                    // 000000007CAC: D3B14004 18032904
	v_pk_mul_f32 v[6:7], v[6:7], v[150:151]                    // 000000007CB4: D3B14006 18032D06
	v_pk_mul_f32 v[4:5], v[4:5], s[60:61]                      // 000000007CBC: D3B14004 18007904
	v_pk_mul_f32 v[6:7], v[6:7], s[60:61]                      // 000000007CC4: D3B14006 18007906
	v_exp_f32_e32 v4, v4                                       // 000000007CCC: 7E084104
	v_exp_f32_e32 v5, v5                                       // 000000007CD0: 7E0A4105
	v_exp_f32_e32 v6, v6                                       // 000000007CD4: 7E0C4106
	v_exp_f32_e32 v7, v7                                       // 000000007CD8: 7E0E4107
	v_add_f32_e64 v4, v4, 1.0                                  // 000000007CDC: D1010004 0001E504
	v_add_f32_e64 v5, v5, 1.0                                  // 000000007CE4: D1010005 0001E505
	v_add_f32_e64 v6, v6, 1.0                                  // 000000007CEC: D1010006 0001E506
	v_add_f32_e64 v7, v7, 1.0                                  // 000000007CF4: D1010007 0001E507
	v_rcp_f32_e32 v4, v4                                       // 000000007CFC: 7E084504
	v_rcp_f32_e32 v5, v5                                       // 000000007D00: 7E0A4505
	v_rcp_f32_e32 v6, v6                                       // 000000007D04: 7E0C4506
	v_rcp_f32_e32 v7, v7                                       // 000000007D08: 7E0E4507
	v_mul_f32_e32 v148, v148, v4                               // 000000007D0C: 0B280994
	v_mul_f32_e32 v149, v149, v5                               // 000000007D10: 0B2A0B95
	v_mul_f32_e32 v150, v150, v6                               // 000000007D14: 0B2C0D96
	v_mul_f32_e32 v151, v151, v7                               // 000000007D18: 0B2E0F97
	v_mul_f32_e32 v148, v148, v244                             // 000000007D1C: 0B29E994
	v_mul_f32_e32 v149, v149, v245                             // 000000007D20: 0B2BEB95
	v_mul_f32_e32 v150, v150, v246                             // 000000007D24: 0B2DED96
	v_mul_f32_e32 v151, v151, v247                             // 000000007D28: 0B2FEF97
	v_pk_mul_f32 v[4:5], v[152:153], v[152:153]                // 000000007D2C: D3B14004 18033198
	v_pk_mul_f32 v[6:7], v[154:155], v[154:155]                // 000000007D34: D3B14006 1803359A
	v_pk_fma_f32 v[4:5], v[4:5], s[78:79], v[8:9]              // 000000007D3C: D3B04004 1C209D04
	v_pk_fma_f32 v[6:7], v[6:7], s[78:79], v[8:9]              // 000000007D44: D3B04006 1C209D06
	v_pk_mul_f32 v[4:5], v[4:5], v[152:153]                    // 000000007D4C: D3B14004 18033104
	v_pk_mul_f32 v[6:7], v[6:7], v[154:155]                    // 000000007D54: D3B14006 18033506
	v_pk_mul_f32 v[4:5], v[4:5], s[60:61]                      // 000000007D5C: D3B14004 18007904
	v_pk_mul_f32 v[6:7], v[6:7], s[60:61]                      // 000000007D64: D3B14006 18007906
	v_exp_f32_e32 v4, v4                                       // 000000007D6C: 7E084104
	v_exp_f32_e32 v5, v5                                       // 000000007D70: 7E0A4105
	v_exp_f32_e32 v6, v6                                       // 000000007D74: 7E0C4106
	v_exp_f32_e32 v7, v7                                       // 000000007D78: 7E0E4107
	v_add_f32_e64 v4, v4, 1.0                                  // 000000007D7C: D1010004 0001E504
	v_add_f32_e64 v5, v5, 1.0                                  // 000000007D84: D1010005 0001E505
	v_add_f32_e64 v6, v6, 1.0                                  // 000000007D8C: D1010006 0001E506
	v_add_f32_e64 v7, v7, 1.0                                  // 000000007D94: D1010007 0001E507
	v_rcp_f32_e32 v4, v4                                       // 000000007D9C: 7E084504
	v_rcp_f32_e32 v5, v5                                       // 000000007DA0: 7E0A4505
	v_rcp_f32_e32 v6, v6                                       // 000000007DA4: 7E0C4506
	v_rcp_f32_e32 v7, v7                                       // 000000007DA8: 7E0E4507
	v_mul_f32_e32 v152, v152, v4                               // 000000007DAC: 0B300998
	v_mul_f32_e32 v153, v153, v5                               // 000000007DB0: 0B320B99
	v_mul_f32_e32 v154, v154, v6                               // 000000007DB4: 0B340D9A
	v_mul_f32_e32 v155, v155, v7                               // 000000007DB8: 0B360F9B
	v_mul_f32_e32 v152, v152, v248                             // 000000007DBC: 0B31F198
	v_mul_f32_e32 v153, v153, v249                             // 000000007DC0: 0B33F399
	v_mul_f32_e32 v154, v154, v250                             // 000000007DC4: 0B35F59A
	v_mul_f32_e32 v155, v155, v251                             // 000000007DC8: 0B37F79B
	s_branch label_17F4                                        // 000000007DCC: BF820300

0000000000007dd0 <label_14F4>:
	v_mul_f32_e64 v4, -v60, s6                                 // 000000007DD0: D1050004 20000D3C
	v_mul_f32_e64 v5, -v61, s6                                 // 000000007DD8: D1050005 20000D3D
	v_mul_f32_e64 v6, -v62, s6                                 // 000000007DE0: D1050006 20000D3E
	v_mul_f32_e64 v7, -v63, s6                                 // 000000007DE8: D1050007 20000D3F
	v_exp_f32_e32 v4, v4                                       // 000000007DF0: 7E084104
	v_exp_f32_e32 v5, v5                                       // 000000007DF4: 7E0A4105
	v_exp_f32_e32 v6, v6                                       // 000000007DF8: 7E0C4106
	v_exp_f32_e32 v7, v7                                       // 000000007DFC: 7E0E4107
	v_add_f32_e64 v4, v4, 1.0                                  // 000000007E00: D1010004 0001E504
	v_add_f32_e64 v5, v5, 1.0                                  // 000000007E08: D1010005 0001E505
	v_add_f32_e64 v6, v6, 1.0                                  // 000000007E10: D1010006 0001E506
	v_add_f32_e64 v7, v7, 1.0                                  // 000000007E18: D1010007 0001E507
	v_rcp_f32_e32 v4, v4                                       // 000000007E20: 7E084504
	v_rcp_f32_e32 v5, v5                                       // 000000007E24: 7E0A4505
	v_rcp_f32_e32 v6, v6                                       // 000000007E28: 7E0C4506
	v_rcp_f32_e32 v7, v7                                       // 000000007E2C: 7E0E4507
	v_mul_f32_e32 v60, v60, v4                                 // 000000007E30: 0A78093C
	v_mul_f32_e32 v61, v61, v5                                 // 000000007E34: 0A7A0B3D
	v_mul_f32_e32 v62, v62, v6                                 // 000000007E38: 0A7C0D3E
	v_mul_f32_e32 v63, v63, v7                                 // 000000007E3C: 0A7E0F3F
	v_mul_f32_e32 v60, v60, v156                               // 000000007E40: 0A79393C
	v_mul_f32_e32 v61, v61, v157                               // 000000007E44: 0A7B3B3D
	v_mul_f32_e32 v62, v62, v158                               // 000000007E48: 0A7D3D3E
	v_mul_f32_e32 v63, v63, v159                               // 000000007E4C: 0A7F3F3F
	v_mul_f32_e64 v4, -v64, s6                                 // 000000007E50: D1050004 20000D40
	v_mul_f32_e64 v5, -v65, s6                                 // 000000007E58: D1050005 20000D41
	v_mul_f32_e64 v6, -v66, s6                                 // 000000007E60: D1050006 20000D42
	v_mul_f32_e64 v7, -v67, s6                                 // 000000007E68: D1050007 20000D43
	v_exp_f32_e32 v4, v4                                       // 000000007E70: 7E084104
	v_exp_f32_e32 v5, v5                                       // 000000007E74: 7E0A4105
	v_exp_f32_e32 v6, v6                                       // 000000007E78: 7E0C4106
	v_exp_f32_e32 v7, v7                                       // 000000007E7C: 7E0E4107
	v_add_f32_e64 v4, v4, 1.0                                  // 000000007E80: D1010004 0001E504
	v_add_f32_e64 v5, v5, 1.0                                  // 000000007E88: D1010005 0001E505
	v_add_f32_e64 v6, v6, 1.0                                  // 000000007E90: D1010006 0001E506
	v_add_f32_e64 v7, v7, 1.0                                  // 000000007E98: D1010007 0001E507
	v_rcp_f32_e32 v4, v4                                       // 000000007EA0: 7E084504
	v_rcp_f32_e32 v5, v5                                       // 000000007EA4: 7E0A4505
	v_rcp_f32_e32 v6, v6                                       // 000000007EA8: 7E0C4506
	v_rcp_f32_e32 v7, v7                                       // 000000007EAC: 7E0E4507
	v_mul_f32_e32 v64, v64, v4                                 // 000000007EB0: 0A800940
	v_mul_f32_e32 v65, v65, v5                                 // 000000007EB4: 0A820B41
	v_mul_f32_e32 v66, v66, v6                                 // 000000007EB8: 0A840D42
	v_mul_f32_e32 v67, v67, v7                                 // 000000007EBC: 0A860F43
	v_mul_f32_e32 v64, v64, v160                               // 000000007EC0: 0A814140
	v_mul_f32_e32 v65, v65, v161                               // 000000007EC4: 0A834341
	v_mul_f32_e32 v66, v66, v162                               // 000000007EC8: 0A854542
	v_mul_f32_e32 v67, v67, v163                               // 000000007ECC: 0A874743
	v_mul_f32_e64 v4, -v68, s6                                 // 000000007ED0: D1050004 20000D44
	v_mul_f32_e64 v5, -v69, s6                                 // 000000007ED8: D1050005 20000D45
	v_mul_f32_e64 v6, -v70, s6                                 // 000000007EE0: D1050006 20000D46
	v_mul_f32_e64 v7, -v71, s6                                 // 000000007EE8: D1050007 20000D47
	v_exp_f32_e32 v4, v4                                       // 000000007EF0: 7E084104
	v_exp_f32_e32 v5, v5                                       // 000000007EF4: 7E0A4105
	v_exp_f32_e32 v6, v6                                       // 000000007EF8: 7E0C4106
	v_exp_f32_e32 v7, v7                                       // 000000007EFC: 7E0E4107
	v_add_f32_e64 v4, v4, 1.0                                  // 000000007F00: D1010004 0001E504
	v_add_f32_e64 v5, v5, 1.0                                  // 000000007F08: D1010005 0001E505
	v_add_f32_e64 v6, v6, 1.0                                  // 000000007F10: D1010006 0001E506
	v_add_f32_e64 v7, v7, 1.0                                  // 000000007F18: D1010007 0001E507
	v_rcp_f32_e32 v4, v4                                       // 000000007F20: 7E084504
	v_rcp_f32_e32 v5, v5                                       // 000000007F24: 7E0A4505
	v_rcp_f32_e32 v6, v6                                       // 000000007F28: 7E0C4506
	v_rcp_f32_e32 v7, v7                                       // 000000007F2C: 7E0E4507
	v_mul_f32_e32 v68, v68, v4                                 // 000000007F30: 0A880944
	v_mul_f32_e32 v69, v69, v5                                 // 000000007F34: 0A8A0B45
	v_mul_f32_e32 v70, v70, v6                                 // 000000007F38: 0A8C0D46
	v_mul_f32_e32 v71, v71, v7                                 // 000000007F3C: 0A8E0F47
	v_mul_f32_e32 v68, v68, v164                               // 000000007F40: 0A894944
	v_mul_f32_e32 v69, v69, v165                               // 000000007F44: 0A8B4B45
	v_mul_f32_e32 v70, v70, v166                               // 000000007F48: 0A8D4D46
	v_mul_f32_e32 v71, v71, v167                               // 000000007F4C: 0A8F4F47
	v_mul_f32_e64 v4, -v72, s6                                 // 000000007F50: D1050004 20000D48
	v_mul_f32_e64 v5, -v73, s6                                 // 000000007F58: D1050005 20000D49
	v_mul_f32_e64 v6, -v74, s6                                 // 000000007F60: D1050006 20000D4A
	v_mul_f32_e64 v7, -v75, s6                                 // 000000007F68: D1050007 20000D4B
	v_exp_f32_e32 v4, v4                                       // 000000007F70: 7E084104
	v_exp_f32_e32 v5, v5                                       // 000000007F74: 7E0A4105
	v_exp_f32_e32 v6, v6                                       // 000000007F78: 7E0C4106
	v_exp_f32_e32 v7, v7                                       // 000000007F7C: 7E0E4107
	v_add_f32_e64 v4, v4, 1.0                                  // 000000007F80: D1010004 0001E504
	v_add_f32_e64 v5, v5, 1.0                                  // 000000007F88: D1010005 0001E505
	v_add_f32_e64 v6, v6, 1.0                                  // 000000007F90: D1010006 0001E506
	v_add_f32_e64 v7, v7, 1.0                                  // 000000007F98: D1010007 0001E507
	v_rcp_f32_e32 v4, v4                                       // 000000007FA0: 7E084504
	v_rcp_f32_e32 v5, v5                                       // 000000007FA4: 7E0A4505
	v_rcp_f32_e32 v6, v6                                       // 000000007FA8: 7E0C4506
	v_rcp_f32_e32 v7, v7                                       // 000000007FAC: 7E0E4507
	v_mul_f32_e32 v72, v72, v4                                 // 000000007FB0: 0A900948
	v_mul_f32_e32 v73, v73, v5                                 // 000000007FB4: 0A920B49
	v_mul_f32_e32 v74, v74, v6                                 // 000000007FB8: 0A940D4A
	v_mul_f32_e32 v75, v75, v7                                 // 000000007FBC: 0A960F4B
	v_mul_f32_e32 v72, v72, v168                               // 000000007FC0: 0A915148
	v_mul_f32_e32 v73, v73, v169                               // 000000007FC4: 0A935349
	v_mul_f32_e32 v74, v74, v170                               // 000000007FC8: 0A95554A
	v_mul_f32_e32 v75, v75, v171                               // 000000007FCC: 0A97574B
	v_mul_f32_e64 v4, -v76, s6                                 // 000000007FD0: D1050004 20000D4C
	v_mul_f32_e64 v5, -v77, s6                                 // 000000007FD8: D1050005 20000D4D
	v_mul_f32_e64 v6, -v78, s6                                 // 000000007FE0: D1050006 20000D4E
	v_mul_f32_e64 v7, -v79, s6                                 // 000000007FE8: D1050007 20000D4F
	v_exp_f32_e32 v4, v4                                       // 000000007FF0: 7E084104
	v_exp_f32_e32 v5, v5                                       // 000000007FF4: 7E0A4105
	v_exp_f32_e32 v6, v6                                       // 000000007FF8: 7E0C4106
	v_exp_f32_e32 v7, v7                                       // 000000007FFC: 7E0E4107
	v_add_f32_e64 v4, v4, 1.0                                  // 000000008000: D1010004 0001E504
	v_add_f32_e64 v5, v5, 1.0                                  // 000000008008: D1010005 0001E505
	v_add_f32_e64 v6, v6, 1.0                                  // 000000008010: D1010006 0001E506
	v_add_f32_e64 v7, v7, 1.0                                  // 000000008018: D1010007 0001E507
	v_rcp_f32_e32 v4, v4                                       // 000000008020: 7E084504
	v_rcp_f32_e32 v5, v5                                       // 000000008024: 7E0A4505
	v_rcp_f32_e32 v6, v6                                       // 000000008028: 7E0C4506
	v_rcp_f32_e32 v7, v7                                       // 00000000802C: 7E0E4507
	v_mul_f32_e32 v76, v76, v4                                 // 000000008030: 0A98094C
	v_mul_f32_e32 v77, v77, v5                                 // 000000008034: 0A9A0B4D
	v_mul_f32_e32 v78, v78, v6                                 // 000000008038: 0A9C0D4E
	v_mul_f32_e32 v79, v79, v7                                 // 00000000803C: 0A9E0F4F
	v_mul_f32_e32 v76, v76, v172                               // 000000008040: 0A99594C
	v_mul_f32_e32 v77, v77, v173                               // 000000008044: 0A9B5B4D
	v_mul_f32_e32 v78, v78, v174                               // 000000008048: 0A9D5D4E
	v_mul_f32_e32 v79, v79, v175                               // 00000000804C: 0A9F5F4F
	v_mul_f32_e64 v4, -v80, s6                                 // 000000008050: D1050004 20000D50
	v_mul_f32_e64 v5, -v81, s6                                 // 000000008058: D1050005 20000D51
	v_mul_f32_e64 v6, -v82, s6                                 // 000000008060: D1050006 20000D52
	v_mul_f32_e64 v7, -v83, s6                                 // 000000008068: D1050007 20000D53
	v_exp_f32_e32 v4, v4                                       // 000000008070: 7E084104
	v_exp_f32_e32 v5, v5                                       // 000000008074: 7E0A4105
	v_exp_f32_e32 v6, v6                                       // 000000008078: 7E0C4106
	v_exp_f32_e32 v7, v7                                       // 00000000807C: 7E0E4107
	v_add_f32_e64 v4, v4, 1.0                                  // 000000008080: D1010004 0001E504
	v_add_f32_e64 v5, v5, 1.0                                  // 000000008088: D1010005 0001E505
	v_add_f32_e64 v6, v6, 1.0                                  // 000000008090: D1010006 0001E506
	v_add_f32_e64 v7, v7, 1.0                                  // 000000008098: D1010007 0001E507
	v_rcp_f32_e32 v4, v4                                       // 0000000080A0: 7E084504
	v_rcp_f32_e32 v5, v5                                       // 0000000080A4: 7E0A4505
	v_rcp_f32_e32 v6, v6                                       // 0000000080A8: 7E0C4506
	v_rcp_f32_e32 v7, v7                                       // 0000000080AC: 7E0E4507
	v_mul_f32_e32 v80, v80, v4                                 // 0000000080B0: 0AA00950
	v_mul_f32_e32 v81, v81, v5                                 // 0000000080B4: 0AA20B51
	v_mul_f32_e32 v82, v82, v6                                 // 0000000080B8: 0AA40D52
	v_mul_f32_e32 v83, v83, v7                                 // 0000000080BC: 0AA60F53
	v_mul_f32_e32 v80, v80, v176                               // 0000000080C0: 0AA16150
	v_mul_f32_e32 v81, v81, v177                               // 0000000080C4: 0AA36351
	v_mul_f32_e32 v82, v82, v178                               // 0000000080C8: 0AA56552
	v_mul_f32_e32 v83, v83, v179                               // 0000000080CC: 0AA76753
	v_mul_f32_e64 v4, -v84, s6                                 // 0000000080D0: D1050004 20000D54
	v_mul_f32_e64 v5, -v85, s6                                 // 0000000080D8: D1050005 20000D55
	v_mul_f32_e64 v6, -v86, s6                                 // 0000000080E0: D1050006 20000D56
	v_mul_f32_e64 v7, -v87, s6                                 // 0000000080E8: D1050007 20000D57
	v_exp_f32_e32 v4, v4                                       // 0000000080F0: 7E084104
	v_exp_f32_e32 v5, v5                                       // 0000000080F4: 7E0A4105
	v_exp_f32_e32 v6, v6                                       // 0000000080F8: 7E0C4106
	v_exp_f32_e32 v7, v7                                       // 0000000080FC: 7E0E4107
	v_add_f32_e64 v4, v4, 1.0                                  // 000000008100: D1010004 0001E504
	v_add_f32_e64 v5, v5, 1.0                                  // 000000008108: D1010005 0001E505
	v_add_f32_e64 v6, v6, 1.0                                  // 000000008110: D1010006 0001E506
	v_add_f32_e64 v7, v7, 1.0                                  // 000000008118: D1010007 0001E507
	v_rcp_f32_e32 v4, v4                                       // 000000008120: 7E084504
	v_rcp_f32_e32 v5, v5                                       // 000000008124: 7E0A4505
	v_rcp_f32_e32 v6, v6                                       // 000000008128: 7E0C4506
	v_rcp_f32_e32 v7, v7                                       // 00000000812C: 7E0E4507
	v_mul_f32_e32 v84, v84, v4                                 // 000000008130: 0AA80954
	v_mul_f32_e32 v85, v85, v5                                 // 000000008134: 0AAA0B55
	v_mul_f32_e32 v86, v86, v6                                 // 000000008138: 0AAC0D56
	v_mul_f32_e32 v87, v87, v7                                 // 00000000813C: 0AAE0F57
	v_mul_f32_e32 v84, v84, v180                               // 000000008140: 0AA96954
	v_mul_f32_e32 v85, v85, v181                               // 000000008144: 0AAB6B55
	v_mul_f32_e32 v86, v86, v182                               // 000000008148: 0AAD6D56
	v_mul_f32_e32 v87, v87, v183                               // 00000000814C: 0AAF6F57
	v_mul_f32_e64 v4, -v88, s6                                 // 000000008150: D1050004 20000D58
	v_mul_f32_e64 v5, -v89, s6                                 // 000000008158: D1050005 20000D59
	v_mul_f32_e64 v6, -v90, s6                                 // 000000008160: D1050006 20000D5A
	v_mul_f32_e64 v7, -v91, s6                                 // 000000008168: D1050007 20000D5B
	v_exp_f32_e32 v4, v4                                       // 000000008170: 7E084104
	v_exp_f32_e32 v5, v5                                       // 000000008174: 7E0A4105
	v_exp_f32_e32 v6, v6                                       // 000000008178: 7E0C4106
	v_exp_f32_e32 v7, v7                                       // 00000000817C: 7E0E4107
	v_add_f32_e64 v4, v4, 1.0                                  // 000000008180: D1010004 0001E504
	v_add_f32_e64 v5, v5, 1.0                                  // 000000008188: D1010005 0001E505
	v_add_f32_e64 v6, v6, 1.0                                  // 000000008190: D1010006 0001E506
	v_add_f32_e64 v7, v7, 1.0                                  // 000000008198: D1010007 0001E507
	v_rcp_f32_e32 v4, v4                                       // 0000000081A0: 7E084504
	v_rcp_f32_e32 v5, v5                                       // 0000000081A4: 7E0A4505
	v_rcp_f32_e32 v6, v6                                       // 0000000081A8: 7E0C4506
	v_rcp_f32_e32 v7, v7                                       // 0000000081AC: 7E0E4507
	v_mul_f32_e32 v88, v88, v4                                 // 0000000081B0: 0AB00958
	v_mul_f32_e32 v89, v89, v5                                 // 0000000081B4: 0AB20B59
	v_mul_f32_e32 v90, v90, v6                                 // 0000000081B8: 0AB40D5A
	v_mul_f32_e32 v91, v91, v7                                 // 0000000081BC: 0AB60F5B
	v_mul_f32_e32 v88, v88, v184                               // 0000000081C0: 0AB17158
	v_mul_f32_e32 v89, v89, v185                               // 0000000081C4: 0AB37359
	v_mul_f32_e32 v90, v90, v186                               // 0000000081C8: 0AB5755A
	v_mul_f32_e32 v91, v91, v187                               // 0000000081CC: 0AB7775B
	v_mul_f32_e64 v4, -v92, s6                                 // 0000000081D0: D1050004 20000D5C
	v_mul_f32_e64 v5, -v93, s6                                 // 0000000081D8: D1050005 20000D5D
	v_mul_f32_e64 v6, -v94, s6                                 // 0000000081E0: D1050006 20000D5E
	v_mul_f32_e64 v7, -v95, s6                                 // 0000000081E8: D1050007 20000D5F
	v_exp_f32_e32 v4, v4                                       // 0000000081F0: 7E084104
	v_exp_f32_e32 v5, v5                                       // 0000000081F4: 7E0A4105
	v_exp_f32_e32 v6, v6                                       // 0000000081F8: 7E0C4106
	v_exp_f32_e32 v7, v7                                       // 0000000081FC: 7E0E4107
	v_add_f32_e64 v4, v4, 1.0                                  // 000000008200: D1010004 0001E504
	v_add_f32_e64 v5, v5, 1.0                                  // 000000008208: D1010005 0001E505
	v_add_f32_e64 v6, v6, 1.0                                  // 000000008210: D1010006 0001E506
	v_add_f32_e64 v7, v7, 1.0                                  // 000000008218: D1010007 0001E507
	v_rcp_f32_e32 v4, v4                                       // 000000008220: 7E084504
	v_rcp_f32_e32 v5, v5                                       // 000000008224: 7E0A4505
	v_rcp_f32_e32 v6, v6                                       // 000000008228: 7E0C4506
	v_rcp_f32_e32 v7, v7                                       // 00000000822C: 7E0E4507
	v_mul_f32_e32 v92, v92, v4                                 // 000000008230: 0AB8095C
	v_mul_f32_e32 v93, v93, v5                                 // 000000008234: 0ABA0B5D
	v_mul_f32_e32 v94, v94, v6                                 // 000000008238: 0ABC0D5E
	v_mul_f32_e32 v95, v95, v7                                 // 00000000823C: 0ABE0F5F
	v_mul_f32_e32 v92, v92, v188                               // 000000008240: 0AB9795C
	v_mul_f32_e32 v93, v93, v189                               // 000000008244: 0ABB7B5D
	v_mul_f32_e32 v94, v94, v190                               // 000000008248: 0ABD7D5E
	v_mul_f32_e32 v95, v95, v191                               // 00000000824C: 0ABF7F5F
	v_mul_f32_e64 v4, -v96, s6                                 // 000000008250: D1050004 20000D60
	v_mul_f32_e64 v5, -v97, s6                                 // 000000008258: D1050005 20000D61
	v_mul_f32_e64 v6, -v98, s6                                 // 000000008260: D1050006 20000D62
	v_mul_f32_e64 v7, -v99, s6                                 // 000000008268: D1050007 20000D63
	v_exp_f32_e32 v4, v4                                       // 000000008270: 7E084104
	v_exp_f32_e32 v5, v5                                       // 000000008274: 7E0A4105
	v_exp_f32_e32 v6, v6                                       // 000000008278: 7E0C4106
	v_exp_f32_e32 v7, v7                                       // 00000000827C: 7E0E4107
	v_add_f32_e64 v4, v4, 1.0                                  // 000000008280: D1010004 0001E504
	v_add_f32_e64 v5, v5, 1.0                                  // 000000008288: D1010005 0001E505
	v_add_f32_e64 v6, v6, 1.0                                  // 000000008290: D1010006 0001E506
	v_add_f32_e64 v7, v7, 1.0                                  // 000000008298: D1010007 0001E507
	v_rcp_f32_e32 v4, v4                                       // 0000000082A0: 7E084504
	v_rcp_f32_e32 v5, v5                                       // 0000000082A4: 7E0A4505
	v_rcp_f32_e32 v6, v6                                       // 0000000082A8: 7E0C4506
	v_rcp_f32_e32 v7, v7                                       // 0000000082AC: 7E0E4507
	v_mul_f32_e32 v96, v96, v4                                 // 0000000082B0: 0AC00960
	v_mul_f32_e32 v97, v97, v5                                 // 0000000082B4: 0AC20B61
	v_mul_f32_e32 v98, v98, v6                                 // 0000000082B8: 0AC40D62
	v_mul_f32_e32 v99, v99, v7                                 // 0000000082BC: 0AC60F63
	v_mul_f32_e32 v96, v96, v192                               // 0000000082C0: 0AC18160
	v_mul_f32_e32 v97, v97, v193                               // 0000000082C4: 0AC38361
	v_mul_f32_e32 v98, v98, v194                               // 0000000082C8: 0AC58562
	v_mul_f32_e32 v99, v99, v195                               // 0000000082CC: 0AC78763
	v_mul_f32_e64 v4, -v100, s6                                // 0000000082D0: D1050004 20000D64
	v_mul_f32_e64 v5, -v101, s6                                // 0000000082D8: D1050005 20000D65
	v_mul_f32_e64 v6, -v102, s6                                // 0000000082E0: D1050006 20000D66
	v_mul_f32_e64 v7, -v103, s6                                // 0000000082E8: D1050007 20000D67
	v_exp_f32_e32 v4, v4                                       // 0000000082F0: 7E084104
	v_exp_f32_e32 v5, v5                                       // 0000000082F4: 7E0A4105
	v_exp_f32_e32 v6, v6                                       // 0000000082F8: 7E0C4106
	v_exp_f32_e32 v7, v7                                       // 0000000082FC: 7E0E4107
	v_add_f32_e64 v4, v4, 1.0                                  // 000000008300: D1010004 0001E504
	v_add_f32_e64 v5, v5, 1.0                                  // 000000008308: D1010005 0001E505
	v_add_f32_e64 v6, v6, 1.0                                  // 000000008310: D1010006 0001E506
	v_add_f32_e64 v7, v7, 1.0                                  // 000000008318: D1010007 0001E507
	v_rcp_f32_e32 v4, v4                                       // 000000008320: 7E084504
	v_rcp_f32_e32 v5, v5                                       // 000000008324: 7E0A4505
	v_rcp_f32_e32 v6, v6                                       // 000000008328: 7E0C4506
	v_rcp_f32_e32 v7, v7                                       // 00000000832C: 7E0E4507
	v_mul_f32_e32 v100, v100, v4                               // 000000008330: 0AC80964
	v_mul_f32_e32 v101, v101, v5                               // 000000008334: 0ACA0B65
	v_mul_f32_e32 v102, v102, v6                               // 000000008338: 0ACC0D66
	v_mul_f32_e32 v103, v103, v7                               // 00000000833C: 0ACE0F67
	v_mul_f32_e32 v100, v100, v196                             // 000000008340: 0AC98964
	v_mul_f32_e32 v101, v101, v197                             // 000000008344: 0ACB8B65
	v_mul_f32_e32 v102, v102, v198                             // 000000008348: 0ACD8D66
	v_mul_f32_e32 v103, v103, v199                             // 00000000834C: 0ACF8F67
	v_mul_f32_e64 v4, -v104, s6                                // 000000008350: D1050004 20000D68
	v_mul_f32_e64 v5, -v105, s6                                // 000000008358: D1050005 20000D69
	v_mul_f32_e64 v6, -v106, s6                                // 000000008360: D1050006 20000D6A
	v_mul_f32_e64 v7, -v107, s6                                // 000000008368: D1050007 20000D6B
	v_exp_f32_e32 v4, v4                                       // 000000008370: 7E084104
	v_exp_f32_e32 v5, v5                                       // 000000008374: 7E0A4105
	v_exp_f32_e32 v6, v6                                       // 000000008378: 7E0C4106
	v_exp_f32_e32 v7, v7                                       // 00000000837C: 7E0E4107
	v_add_f32_e64 v4, v4, 1.0                                  // 000000008380: D1010004 0001E504
	v_add_f32_e64 v5, v5, 1.0                                  // 000000008388: D1010005 0001E505
	v_add_f32_e64 v6, v6, 1.0                                  // 000000008390: D1010006 0001E506
	v_add_f32_e64 v7, v7, 1.0                                  // 000000008398: D1010007 0001E507
	v_rcp_f32_e32 v4, v4                                       // 0000000083A0: 7E084504
	v_rcp_f32_e32 v5, v5                                       // 0000000083A4: 7E0A4505
	v_rcp_f32_e32 v6, v6                                       // 0000000083A8: 7E0C4506
	v_rcp_f32_e32 v7, v7                                       // 0000000083AC: 7E0E4507
	v_mul_f32_e32 v104, v104, v4                               // 0000000083B0: 0AD00968
	v_mul_f32_e32 v105, v105, v5                               // 0000000083B4: 0AD20B69
	v_mul_f32_e32 v106, v106, v6                               // 0000000083B8: 0AD40D6A
	v_mul_f32_e32 v107, v107, v7                               // 0000000083BC: 0AD60F6B
	v_mul_f32_e32 v104, v104, v200                             // 0000000083C0: 0AD19168
	v_mul_f32_e32 v105, v105, v201                             // 0000000083C4: 0AD39369
	v_mul_f32_e32 v106, v106, v202                             // 0000000083C8: 0AD5956A
	v_mul_f32_e32 v107, v107, v203                             // 0000000083CC: 0AD7976B
	v_mul_f32_e64 v4, -v108, s6                                // 0000000083D0: D1050004 20000D6C
	v_mul_f32_e64 v5, -v109, s6                                // 0000000083D8: D1050005 20000D6D
	v_mul_f32_e64 v6, -v110, s6                                // 0000000083E0: D1050006 20000D6E
	v_mul_f32_e64 v7, -v111, s6                                // 0000000083E8: D1050007 20000D6F
	v_exp_f32_e32 v4, v4                                       // 0000000083F0: 7E084104
	v_exp_f32_e32 v5, v5                                       // 0000000083F4: 7E0A4105
	v_exp_f32_e32 v6, v6                                       // 0000000083F8: 7E0C4106
	v_exp_f32_e32 v7, v7                                       // 0000000083FC: 7E0E4107
	v_add_f32_e64 v4, v4, 1.0                                  // 000000008400: D1010004 0001E504
	v_add_f32_e64 v5, v5, 1.0                                  // 000000008408: D1010005 0001E505
	v_add_f32_e64 v6, v6, 1.0                                  // 000000008410: D1010006 0001E506
	v_add_f32_e64 v7, v7, 1.0                                  // 000000008418: D1010007 0001E507
	v_rcp_f32_e32 v4, v4                                       // 000000008420: 7E084504
	v_rcp_f32_e32 v5, v5                                       // 000000008424: 7E0A4505
	v_rcp_f32_e32 v6, v6                                       // 000000008428: 7E0C4506
	v_rcp_f32_e32 v7, v7                                       // 00000000842C: 7E0E4507
	v_mul_f32_e32 v108, v108, v4                               // 000000008430: 0AD8096C
	v_mul_f32_e32 v109, v109, v5                               // 000000008434: 0ADA0B6D
	v_mul_f32_e32 v110, v110, v6                               // 000000008438: 0ADC0D6E
	v_mul_f32_e32 v111, v111, v7                               // 00000000843C: 0ADE0F6F
	v_mul_f32_e32 v108, v108, v204                             // 000000008440: 0AD9996C
	v_mul_f32_e32 v109, v109, v205                             // 000000008444: 0ADB9B6D
	v_mul_f32_e32 v110, v110, v206                             // 000000008448: 0ADD9D6E
	v_mul_f32_e32 v111, v111, v207                             // 00000000844C: 0ADF9F6F
	v_mul_f32_e64 v4, -v112, s6                                // 000000008450: D1050004 20000D70
	v_mul_f32_e64 v5, -v113, s6                                // 000000008458: D1050005 20000D71
	v_mul_f32_e64 v6, -v114, s6                                // 000000008460: D1050006 20000D72
	v_mul_f32_e64 v7, -v115, s6                                // 000000008468: D1050007 20000D73
	v_exp_f32_e32 v4, v4                                       // 000000008470: 7E084104
	v_exp_f32_e32 v5, v5                                       // 000000008474: 7E0A4105
	v_exp_f32_e32 v6, v6                                       // 000000008478: 7E0C4106
	v_exp_f32_e32 v7, v7                                       // 00000000847C: 7E0E4107
	v_add_f32_e64 v4, v4, 1.0                                  // 000000008480: D1010004 0001E504
	v_add_f32_e64 v5, v5, 1.0                                  // 000000008488: D1010005 0001E505
	v_add_f32_e64 v6, v6, 1.0                                  // 000000008490: D1010006 0001E506
	v_add_f32_e64 v7, v7, 1.0                                  // 000000008498: D1010007 0001E507
	v_rcp_f32_e32 v4, v4                                       // 0000000084A0: 7E084504
	v_rcp_f32_e32 v5, v5                                       // 0000000084A4: 7E0A4505
	v_rcp_f32_e32 v6, v6                                       // 0000000084A8: 7E0C4506
	v_rcp_f32_e32 v7, v7                                       // 0000000084AC: 7E0E4507
	v_mul_f32_e32 v112, v112, v4                               // 0000000084B0: 0AE00970
	v_mul_f32_e32 v113, v113, v5                               // 0000000084B4: 0AE20B71
	v_mul_f32_e32 v114, v114, v6                               // 0000000084B8: 0AE40D72
	v_mul_f32_e32 v115, v115, v7                               // 0000000084BC: 0AE60F73
	v_mul_f32_e32 v112, v112, v208                             // 0000000084C0: 0AE1A170
	v_mul_f32_e32 v113, v113, v209                             // 0000000084C4: 0AE3A371
	v_mul_f32_e32 v114, v114, v210                             // 0000000084C8: 0AE5A572
	v_mul_f32_e32 v115, v115, v211                             // 0000000084CC: 0AE7A773
	v_mul_f32_e64 v4, -v116, s6                                // 0000000084D0: D1050004 20000D74
	v_mul_f32_e64 v5, -v117, s6                                // 0000000084D8: D1050005 20000D75
	v_mul_f32_e64 v6, -v118, s6                                // 0000000084E0: D1050006 20000D76
	v_mul_f32_e64 v7, -v119, s6                                // 0000000084E8: D1050007 20000D77
	v_exp_f32_e32 v4, v4                                       // 0000000084F0: 7E084104
	v_exp_f32_e32 v5, v5                                       // 0000000084F4: 7E0A4105
	v_exp_f32_e32 v6, v6                                       // 0000000084F8: 7E0C4106
	v_exp_f32_e32 v7, v7                                       // 0000000084FC: 7E0E4107
	v_add_f32_e64 v4, v4, 1.0                                  // 000000008500: D1010004 0001E504
	v_add_f32_e64 v5, v5, 1.0                                  // 000000008508: D1010005 0001E505
	v_add_f32_e64 v6, v6, 1.0                                  // 000000008510: D1010006 0001E506
	v_add_f32_e64 v7, v7, 1.0                                  // 000000008518: D1010007 0001E507
	v_rcp_f32_e32 v4, v4                                       // 000000008520: 7E084504
	v_rcp_f32_e32 v5, v5                                       // 000000008524: 7E0A4505
	v_rcp_f32_e32 v6, v6                                       // 000000008528: 7E0C4506
	v_rcp_f32_e32 v7, v7                                       // 00000000852C: 7E0E4507
	v_mul_f32_e32 v116, v116, v4                               // 000000008530: 0AE80974
	v_mul_f32_e32 v117, v117, v5                               // 000000008534: 0AEA0B75
	v_mul_f32_e32 v118, v118, v6                               // 000000008538: 0AEC0D76
	v_mul_f32_e32 v119, v119, v7                               // 00000000853C: 0AEE0F77
	v_mul_f32_e32 v116, v116, v212                             // 000000008540: 0AE9A974
	v_mul_f32_e32 v117, v117, v213                             // 000000008544: 0AEBAB75
	v_mul_f32_e32 v118, v118, v214                             // 000000008548: 0AEDAD76
	v_mul_f32_e32 v119, v119, v215                             // 00000000854C: 0AEFAF77
	v_mul_f32_e64 v4, -v120, s6                                // 000000008550: D1050004 20000D78
	v_mul_f32_e64 v5, -v121, s6                                // 000000008558: D1050005 20000D79
	v_mul_f32_e64 v6, -v122, s6                                // 000000008560: D1050006 20000D7A
	v_mul_f32_e64 v7, -v123, s6                                // 000000008568: D1050007 20000D7B
	v_exp_f32_e32 v4, v4                                       // 000000008570: 7E084104
	v_exp_f32_e32 v5, v5                                       // 000000008574: 7E0A4105
	v_exp_f32_e32 v6, v6                                       // 000000008578: 7E0C4106
	v_exp_f32_e32 v7, v7                                       // 00000000857C: 7E0E4107
	v_add_f32_e64 v4, v4, 1.0                                  // 000000008580: D1010004 0001E504
	v_add_f32_e64 v5, v5, 1.0                                  // 000000008588: D1010005 0001E505
	v_add_f32_e64 v6, v6, 1.0                                  // 000000008590: D1010006 0001E506
	v_add_f32_e64 v7, v7, 1.0                                  // 000000008598: D1010007 0001E507
	v_rcp_f32_e32 v4, v4                                       // 0000000085A0: 7E084504
	v_rcp_f32_e32 v5, v5                                       // 0000000085A4: 7E0A4505
	v_rcp_f32_e32 v6, v6                                       // 0000000085A8: 7E0C4506
	v_rcp_f32_e32 v7, v7                                       // 0000000085AC: 7E0E4507
	v_mul_f32_e32 v120, v120, v4                               // 0000000085B0: 0AF00978
	v_mul_f32_e32 v121, v121, v5                               // 0000000085B4: 0AF20B79
	v_mul_f32_e32 v122, v122, v6                               // 0000000085B8: 0AF40D7A
	v_mul_f32_e32 v123, v123, v7                               // 0000000085BC: 0AF60F7B
	v_mul_f32_e32 v120, v120, v216                             // 0000000085C0: 0AF1B178
	v_mul_f32_e32 v121, v121, v217                             // 0000000085C4: 0AF3B379
	v_mul_f32_e32 v122, v122, v218                             // 0000000085C8: 0AF5B57A
	v_mul_f32_e32 v123, v123, v219                             // 0000000085CC: 0AF7B77B
	v_mul_f32_e64 v4, -v124, s6                                // 0000000085D0: D1050004 20000D7C
	v_mul_f32_e64 v5, -v125, s6                                // 0000000085D8: D1050005 20000D7D
	v_mul_f32_e64 v6, -v126, s6                                // 0000000085E0: D1050006 20000D7E
	v_mul_f32_e64 v7, -v127, s6                                // 0000000085E8: D1050007 20000D7F
	v_exp_f32_e32 v4, v4                                       // 0000000085F0: 7E084104
	v_exp_f32_e32 v5, v5                                       // 0000000085F4: 7E0A4105
	v_exp_f32_e32 v6, v6                                       // 0000000085F8: 7E0C4106
	v_exp_f32_e32 v7, v7                                       // 0000000085FC: 7E0E4107
	v_add_f32_e64 v4, v4, 1.0                                  // 000000008600: D1010004 0001E504
	v_add_f32_e64 v5, v5, 1.0                                  // 000000008608: D1010005 0001E505
	v_add_f32_e64 v6, v6, 1.0                                  // 000000008610: D1010006 0001E506
	v_add_f32_e64 v7, v7, 1.0                                  // 000000008618: D1010007 0001E507
	v_rcp_f32_e32 v4, v4                                       // 000000008620: 7E084504
	v_rcp_f32_e32 v5, v5                                       // 000000008624: 7E0A4505
	v_rcp_f32_e32 v6, v6                                       // 000000008628: 7E0C4506
	v_rcp_f32_e32 v7, v7                                       // 00000000862C: 7E0E4507
	v_mul_f32_e32 v124, v124, v4                               // 000000008630: 0AF8097C
	v_mul_f32_e32 v125, v125, v5                               // 000000008634: 0AFA0B7D
	v_mul_f32_e32 v126, v126, v6                               // 000000008638: 0AFC0D7E
	v_mul_f32_e32 v127, v127, v7                               // 00000000863C: 0AFE0F7F
	v_mul_f32_e32 v124, v124, v220                             // 000000008640: 0AF9B97C
	v_mul_f32_e32 v125, v125, v221                             // 000000008644: 0AFBBB7D
	v_mul_f32_e32 v126, v126, v222                             // 000000008648: 0AFDBD7E
	v_mul_f32_e32 v127, v127, v223                             // 00000000864C: 0AFFBF7F
	v_mul_f32_e64 v4, -v128, s6                                // 000000008650: D1050004 20000D80
	v_mul_f32_e64 v5, -v129, s6                                // 000000008658: D1050005 20000D81
	v_mul_f32_e64 v6, -v130, s6                                // 000000008660: D1050006 20000D82
	v_mul_f32_e64 v7, -v131, s6                                // 000000008668: D1050007 20000D83
	v_exp_f32_e32 v4, v4                                       // 000000008670: 7E084104
	v_exp_f32_e32 v5, v5                                       // 000000008674: 7E0A4105
	v_exp_f32_e32 v6, v6                                       // 000000008678: 7E0C4106
	v_exp_f32_e32 v7, v7                                       // 00000000867C: 7E0E4107
	v_add_f32_e64 v4, v4, 1.0                                  // 000000008680: D1010004 0001E504
	v_add_f32_e64 v5, v5, 1.0                                  // 000000008688: D1010005 0001E505
	v_add_f32_e64 v6, v6, 1.0                                  // 000000008690: D1010006 0001E506
	v_add_f32_e64 v7, v7, 1.0                                  // 000000008698: D1010007 0001E507
	v_rcp_f32_e32 v4, v4                                       // 0000000086A0: 7E084504
	v_rcp_f32_e32 v5, v5                                       // 0000000086A4: 7E0A4505
	v_rcp_f32_e32 v6, v6                                       // 0000000086A8: 7E0C4506
	v_rcp_f32_e32 v7, v7                                       // 0000000086AC: 7E0E4507
	v_mul_f32_e32 v128, v128, v4                               // 0000000086B0: 0B000980
	v_mul_f32_e32 v129, v129, v5                               // 0000000086B4: 0B020B81
	v_mul_f32_e32 v130, v130, v6                               // 0000000086B8: 0B040D82
	v_mul_f32_e32 v131, v131, v7                               // 0000000086BC: 0B060F83
	v_mul_f32_e32 v128, v128, v224                             // 0000000086C0: 0B01C180
	v_mul_f32_e32 v129, v129, v225                             // 0000000086C4: 0B03C381
	v_mul_f32_e32 v130, v130, v226                             // 0000000086C8: 0B05C582
	v_mul_f32_e32 v131, v131, v227                             // 0000000086CC: 0B07C783
	v_mul_f32_e64 v4, -v132, s6                                // 0000000086D0: D1050004 20000D84
	v_mul_f32_e64 v5, -v133, s6                                // 0000000086D8: D1050005 20000D85
	v_mul_f32_e64 v6, -v134, s6                                // 0000000086E0: D1050006 20000D86
	v_mul_f32_e64 v7, -v135, s6                                // 0000000086E8: D1050007 20000D87
	v_exp_f32_e32 v4, v4                                       // 0000000086F0: 7E084104
	v_exp_f32_e32 v5, v5                                       // 0000000086F4: 7E0A4105
	v_exp_f32_e32 v6, v6                                       // 0000000086F8: 7E0C4106
	v_exp_f32_e32 v7, v7                                       // 0000000086FC: 7E0E4107
	v_add_f32_e64 v4, v4, 1.0                                  // 000000008700: D1010004 0001E504
	v_add_f32_e64 v5, v5, 1.0                                  // 000000008708: D1010005 0001E505
	v_add_f32_e64 v6, v6, 1.0                                  // 000000008710: D1010006 0001E506
	v_add_f32_e64 v7, v7, 1.0                                  // 000000008718: D1010007 0001E507
	v_rcp_f32_e32 v4, v4                                       // 000000008720: 7E084504
	v_rcp_f32_e32 v5, v5                                       // 000000008724: 7E0A4505
	v_rcp_f32_e32 v6, v6                                       // 000000008728: 7E0C4506
	v_rcp_f32_e32 v7, v7                                       // 00000000872C: 7E0E4507
	v_mul_f32_e32 v132, v132, v4                               // 000000008730: 0B080984
	v_mul_f32_e32 v133, v133, v5                               // 000000008734: 0B0A0B85
	v_mul_f32_e32 v134, v134, v6                               // 000000008738: 0B0C0D86
	v_mul_f32_e32 v135, v135, v7                               // 00000000873C: 0B0E0F87
	v_mul_f32_e32 v132, v132, v228                             // 000000008740: 0B09C984
	v_mul_f32_e32 v133, v133, v229                             // 000000008744: 0B0BCB85
	v_mul_f32_e32 v134, v134, v230                             // 000000008748: 0B0DCD86
	v_mul_f32_e32 v135, v135, v231                             // 00000000874C: 0B0FCF87
	v_mul_f32_e64 v4, -v136, s6                                // 000000008750: D1050004 20000D88
	v_mul_f32_e64 v5, -v137, s6                                // 000000008758: D1050005 20000D89
	v_mul_f32_e64 v6, -v138, s6                                // 000000008760: D1050006 20000D8A
	v_mul_f32_e64 v7, -v139, s6                                // 000000008768: D1050007 20000D8B
	v_exp_f32_e32 v4, v4                                       // 000000008770: 7E084104
	v_exp_f32_e32 v5, v5                                       // 000000008774: 7E0A4105
	v_exp_f32_e32 v6, v6                                       // 000000008778: 7E0C4106
	v_exp_f32_e32 v7, v7                                       // 00000000877C: 7E0E4107
	v_add_f32_e64 v4, v4, 1.0                                  // 000000008780: D1010004 0001E504
	v_add_f32_e64 v5, v5, 1.0                                  // 000000008788: D1010005 0001E505
	v_add_f32_e64 v6, v6, 1.0                                  // 000000008790: D1010006 0001E506
	v_add_f32_e64 v7, v7, 1.0                                  // 000000008798: D1010007 0001E507
	v_rcp_f32_e32 v4, v4                                       // 0000000087A0: 7E084504
	v_rcp_f32_e32 v5, v5                                       // 0000000087A4: 7E0A4505
	v_rcp_f32_e32 v6, v6                                       // 0000000087A8: 7E0C4506
	v_rcp_f32_e32 v7, v7                                       // 0000000087AC: 7E0E4507
	v_mul_f32_e32 v136, v136, v4                               // 0000000087B0: 0B100988
	v_mul_f32_e32 v137, v137, v5                               // 0000000087B4: 0B120B89
	v_mul_f32_e32 v138, v138, v6                               // 0000000087B8: 0B140D8A
	v_mul_f32_e32 v139, v139, v7                               // 0000000087BC: 0B160F8B
	v_mul_f32_e32 v136, v136, v232                             // 0000000087C0: 0B11D188
	v_mul_f32_e32 v137, v137, v233                             // 0000000087C4: 0B13D389
	v_mul_f32_e32 v138, v138, v234                             // 0000000087C8: 0B15D58A
	v_mul_f32_e32 v139, v139, v235                             // 0000000087CC: 0B17D78B
	v_mul_f32_e64 v4, -v140, s6                                // 0000000087D0: D1050004 20000D8C
	v_mul_f32_e64 v5, -v141, s6                                // 0000000087D8: D1050005 20000D8D
	v_mul_f32_e64 v6, -v142, s6                                // 0000000087E0: D1050006 20000D8E
	v_mul_f32_e64 v7, -v143, s6                                // 0000000087E8: D1050007 20000D8F
	v_exp_f32_e32 v4, v4                                       // 0000000087F0: 7E084104
	v_exp_f32_e32 v5, v5                                       // 0000000087F4: 7E0A4105
	v_exp_f32_e32 v6, v6                                       // 0000000087F8: 7E0C4106
	v_exp_f32_e32 v7, v7                                       // 0000000087FC: 7E0E4107
	v_add_f32_e64 v4, v4, 1.0                                  // 000000008800: D1010004 0001E504
	v_add_f32_e64 v5, v5, 1.0                                  // 000000008808: D1010005 0001E505
	v_add_f32_e64 v6, v6, 1.0                                  // 000000008810: D1010006 0001E506
	v_add_f32_e64 v7, v7, 1.0                                  // 000000008818: D1010007 0001E507
	v_rcp_f32_e32 v4, v4                                       // 000000008820: 7E084504
	v_rcp_f32_e32 v5, v5                                       // 000000008824: 7E0A4505
	v_rcp_f32_e32 v6, v6                                       // 000000008828: 7E0C4506
	v_rcp_f32_e32 v7, v7                                       // 00000000882C: 7E0E4507
	v_mul_f32_e32 v140, v140, v4                               // 000000008830: 0B18098C
	v_mul_f32_e32 v141, v141, v5                               // 000000008834: 0B1A0B8D
	v_mul_f32_e32 v142, v142, v6                               // 000000008838: 0B1C0D8E
	v_mul_f32_e32 v143, v143, v7                               // 00000000883C: 0B1E0F8F
	v_mul_f32_e32 v140, v140, v236                             // 000000008840: 0B19D98C
	v_mul_f32_e32 v141, v141, v237                             // 000000008844: 0B1BDB8D
	v_mul_f32_e32 v142, v142, v238                             // 000000008848: 0B1DDD8E
	v_mul_f32_e32 v143, v143, v239                             // 00000000884C: 0B1FDF8F
	v_mul_f32_e64 v4, -v144, s6                                // 000000008850: D1050004 20000D90
	v_mul_f32_e64 v5, -v145, s6                                // 000000008858: D1050005 20000D91
	v_mul_f32_e64 v6, -v146, s6                                // 000000008860: D1050006 20000D92
	v_mul_f32_e64 v7, -v147, s6                                // 000000008868: D1050007 20000D93
	v_exp_f32_e32 v4, v4                                       // 000000008870: 7E084104
	v_exp_f32_e32 v5, v5                                       // 000000008874: 7E0A4105
	v_exp_f32_e32 v6, v6                                       // 000000008878: 7E0C4106
	v_exp_f32_e32 v7, v7                                       // 00000000887C: 7E0E4107
	v_add_f32_e64 v4, v4, 1.0                                  // 000000008880: D1010004 0001E504
	v_add_f32_e64 v5, v5, 1.0                                  // 000000008888: D1010005 0001E505
	v_add_f32_e64 v6, v6, 1.0                                  // 000000008890: D1010006 0001E506
	v_add_f32_e64 v7, v7, 1.0                                  // 000000008898: D1010007 0001E507
	v_rcp_f32_e32 v4, v4                                       // 0000000088A0: 7E084504
	v_rcp_f32_e32 v5, v5                                       // 0000000088A4: 7E0A4505
	v_rcp_f32_e32 v6, v6                                       // 0000000088A8: 7E0C4506
	v_rcp_f32_e32 v7, v7                                       // 0000000088AC: 7E0E4507
	v_mul_f32_e32 v144, v144, v4                               // 0000000088B0: 0B200990
	v_mul_f32_e32 v145, v145, v5                               // 0000000088B4: 0B220B91
	v_mul_f32_e32 v146, v146, v6                               // 0000000088B8: 0B240D92
	v_mul_f32_e32 v147, v147, v7                               // 0000000088BC: 0B260F93
	v_mul_f32_e32 v144, v144, v240                             // 0000000088C0: 0B21E190
	v_mul_f32_e32 v145, v145, v241                             // 0000000088C4: 0B23E391
	v_mul_f32_e32 v146, v146, v242                             // 0000000088C8: 0B25E592
	v_mul_f32_e32 v147, v147, v243                             // 0000000088CC: 0B27E793
	v_mul_f32_e64 v4, -v148, s6                                // 0000000088D0: D1050004 20000D94
	v_mul_f32_e64 v5, -v149, s6                                // 0000000088D8: D1050005 20000D95
	v_mul_f32_e64 v6, -v150, s6                                // 0000000088E0: D1050006 20000D96
	v_mul_f32_e64 v7, -v151, s6                                // 0000000088E8: D1050007 20000D97
	v_exp_f32_e32 v4, v4                                       // 0000000088F0: 7E084104
	v_exp_f32_e32 v5, v5                                       // 0000000088F4: 7E0A4105
	v_exp_f32_e32 v6, v6                                       // 0000000088F8: 7E0C4106
	v_exp_f32_e32 v7, v7                                       // 0000000088FC: 7E0E4107
	v_add_f32_e64 v4, v4, 1.0                                  // 000000008900: D1010004 0001E504
	v_add_f32_e64 v5, v5, 1.0                                  // 000000008908: D1010005 0001E505
	v_add_f32_e64 v6, v6, 1.0                                  // 000000008910: D1010006 0001E506
	v_add_f32_e64 v7, v7, 1.0                                  // 000000008918: D1010007 0001E507
	v_rcp_f32_e32 v4, v4                                       // 000000008920: 7E084504
	v_rcp_f32_e32 v5, v5                                       // 000000008924: 7E0A4505
	v_rcp_f32_e32 v6, v6                                       // 000000008928: 7E0C4506
	v_rcp_f32_e32 v7, v7                                       // 00000000892C: 7E0E4507
	v_mul_f32_e32 v148, v148, v4                               // 000000008930: 0B280994
	v_mul_f32_e32 v149, v149, v5                               // 000000008934: 0B2A0B95
	v_mul_f32_e32 v150, v150, v6                               // 000000008938: 0B2C0D96
	v_mul_f32_e32 v151, v151, v7                               // 00000000893C: 0B2E0F97
	v_mul_f32_e32 v148, v148, v244                             // 000000008940: 0B29E994
	v_mul_f32_e32 v149, v149, v245                             // 000000008944: 0B2BEB95
	v_mul_f32_e32 v150, v150, v246                             // 000000008948: 0B2DED96
	v_mul_f32_e32 v151, v151, v247                             // 00000000894C: 0B2FEF97
	v_mul_f32_e64 v4, -v152, s6                                // 000000008950: D1050004 20000D98
	v_mul_f32_e64 v5, -v153, s6                                // 000000008958: D1050005 20000D99
	v_mul_f32_e64 v6, -v154, s6                                // 000000008960: D1050006 20000D9A
	v_mul_f32_e64 v7, -v155, s6                                // 000000008968: D1050007 20000D9B
	v_exp_f32_e32 v4, v4                                       // 000000008970: 7E084104
	v_exp_f32_e32 v5, v5                                       // 000000008974: 7E0A4105
	v_exp_f32_e32 v6, v6                                       // 000000008978: 7E0C4106
	v_exp_f32_e32 v7, v7                                       // 00000000897C: 7E0E4107
	v_add_f32_e64 v4, v4, 1.0                                  // 000000008980: D1010004 0001E504
	v_add_f32_e64 v5, v5, 1.0                                  // 000000008988: D1010005 0001E505
	v_add_f32_e64 v6, v6, 1.0                                  // 000000008990: D1010006 0001E506
	v_add_f32_e64 v7, v7, 1.0                                  // 000000008998: D1010007 0001E507
	v_rcp_f32_e32 v4, v4                                       // 0000000089A0: 7E084504
	v_rcp_f32_e32 v5, v5                                       // 0000000089A4: 7E0A4505
	v_rcp_f32_e32 v6, v6                                       // 0000000089A8: 7E0C4506
	v_rcp_f32_e32 v7, v7                                       // 0000000089AC: 7E0E4507
	v_mul_f32_e32 v152, v152, v4                               // 0000000089B0: 0B300998
	v_mul_f32_e32 v153, v153, v5                               // 0000000089B4: 0B320B99
	v_mul_f32_e32 v154, v154, v6                               // 0000000089B8: 0B340D9A
	v_mul_f32_e32 v155, v155, v7                               // 0000000089BC: 0B360F9B
	v_mul_f32_e32 v152, v152, v248                             // 0000000089C0: 0B31F198
	v_mul_f32_e32 v153, v153, v249                             // 0000000089C4: 0B33F399
	v_mul_f32_e32 v154, v154, v250                             // 0000000089C8: 0B35F59A
	v_mul_f32_e32 v155, v155, v251                             // 0000000089CC: 0B37F79B

00000000000089d0 <label_17F4>:
	v_cmp_u_f32_e64 s[46:47], v60, v60                         // 0000000089D0: D048002E 0002793C
	v_add3_u32 v16, v60, v19, 1                                // 0000000089D8: D1FF0010 0206273C
	v_cndmask_b32_e64 v4, v16, v18, s[46:47]                   // 0000000089E0: D1000004 00BA2510
	v_cmp_u_f32_e64 s[46:47], v61, v61                         // 0000000089E8: D048002E 00027B3D
	v_add3_u32 v16, v61, v19, 1                                // 0000000089F0: D1FF0010 0206273D
	v_cndmask_b32_e64 v5, v16, v18, s[46:47]                   // 0000000089F8: D1000005 00BA2510
	v_perm_b32 v60, v5, v4, s52                                // 000000008A00: D1ED003C 00D20905
	v_cmp_u_f32_e64 s[46:47], v62, v62                         // 000000008A08: D048002E 00027D3E
	v_add3_u32 v16, v62, v19, 1                                // 000000008A10: D1FF0010 0206273E
	v_cndmask_b32_e64 v4, v16, v18, s[46:47]                   // 000000008A18: D1000004 00BA2510
	v_cmp_u_f32_e64 s[46:47], v63, v63                         // 000000008A20: D048002E 00027F3F
	v_add3_u32 v16, v63, v19, 1                                // 000000008A28: D1FF0010 0206273F
	v_cndmask_b32_e64 v5, v16, v18, s[46:47]                   // 000000008A30: D1000005 00BA2510
	v_perm_b32 v61, v5, v4, s52                                // 000000008A38: D1ED003D 00D20905
	v_cmp_u_f32_e64 s[46:47], v64, v64                         // 000000008A40: D048002E 00028140
	v_add3_u32 v16, v64, v19, 1                                // 000000008A48: D1FF0010 02062740
	v_cndmask_b32_e64 v4, v16, v18, s[46:47]                   // 000000008A50: D1000004 00BA2510
	v_cmp_u_f32_e64 s[46:47], v65, v65                         // 000000008A58: D048002E 00028341
	v_add3_u32 v16, v65, v19, 1                                // 000000008A60: D1FF0010 02062741
	v_cndmask_b32_e64 v5, v16, v18, s[46:47]                   // 000000008A68: D1000005 00BA2510
	v_perm_b32 v62, v5, v4, s52                                // 000000008A70: D1ED003E 00D20905
	v_cmp_u_f32_e64 s[46:47], v66, v66                         // 000000008A78: D048002E 00028542
	v_add3_u32 v16, v66, v19, 1                                // 000000008A80: D1FF0010 02062742
	v_cndmask_b32_e64 v4, v16, v18, s[46:47]                   // 000000008A88: D1000004 00BA2510
	v_cmp_u_f32_e64 s[46:47], v67, v67                         // 000000008A90: D048002E 00028743
	v_add3_u32 v16, v67, v19, 1                                // 000000008A98: D1FF0010 02062743
	v_cndmask_b32_e64 v5, v16, v18, s[46:47]                   // 000000008AA0: D1000005 00BA2510
	v_perm_b32 v63, v5, v4, s52                                // 000000008AA8: D1ED003F 00D20905
	v_cmp_u_f32_e64 s[46:47], v68, v68                         // 000000008AB0: D048002E 00028944
	v_add3_u32 v16, v68, v19, 1                                // 000000008AB8: D1FF0010 02062744
	v_cndmask_b32_e64 v4, v16, v18, s[46:47]                   // 000000008AC0: D1000004 00BA2510
	v_cmp_u_f32_e64 s[46:47], v69, v69                         // 000000008AC8: D048002E 00028B45
	v_add3_u32 v16, v69, v19, 1                                // 000000008AD0: D1FF0010 02062745
	v_cndmask_b32_e64 v5, v16, v18, s[46:47]                   // 000000008AD8: D1000005 00BA2510
	v_perm_b32 v64, v5, v4, s52                                // 000000008AE0: D1ED0040 00D20905
	v_cmp_u_f32_e64 s[46:47], v70, v70                         // 000000008AE8: D048002E 00028D46
	v_add3_u32 v16, v70, v19, 1                                // 000000008AF0: D1FF0010 02062746
	v_cndmask_b32_e64 v4, v16, v18, s[46:47]                   // 000000008AF8: D1000004 00BA2510
	v_cmp_u_f32_e64 s[46:47], v71, v71                         // 000000008B00: D048002E 00028F47
	v_add3_u32 v16, v71, v19, 1                                // 000000008B08: D1FF0010 02062747
	v_cndmask_b32_e64 v5, v16, v18, s[46:47]                   // 000000008B10: D1000005 00BA2510
	v_perm_b32 v65, v5, v4, s52                                // 000000008B18: D1ED0041 00D20905
	v_cmp_u_f32_e64 s[46:47], v72, v72                         // 000000008B20: D048002E 00029148
	v_add3_u32 v16, v72, v19, 1                                // 000000008B28: D1FF0010 02062748
	v_cndmask_b32_e64 v4, v16, v18, s[46:47]                   // 000000008B30: D1000004 00BA2510
	v_cmp_u_f32_e64 s[46:47], v73, v73                         // 000000008B38: D048002E 00029349
	v_add3_u32 v16, v73, v19, 1                                // 000000008B40: D1FF0010 02062749
	v_cndmask_b32_e64 v5, v16, v18, s[46:47]                   // 000000008B48: D1000005 00BA2510
	v_perm_b32 v66, v5, v4, s52                                // 000000008B50: D1ED0042 00D20905
	v_cmp_u_f32_e64 s[46:47], v74, v74                         // 000000008B58: D048002E 0002954A
	v_add3_u32 v16, v74, v19, 1                                // 000000008B60: D1FF0010 0206274A
	v_cndmask_b32_e64 v4, v16, v18, s[46:47]                   // 000000008B68: D1000004 00BA2510
	v_cmp_u_f32_e64 s[46:47], v75, v75                         // 000000008B70: D048002E 0002974B
	v_add3_u32 v16, v75, v19, 1                                // 000000008B78: D1FF0010 0206274B
	v_cndmask_b32_e64 v5, v16, v18, s[46:47]                   // 000000008B80: D1000005 00BA2510
	v_perm_b32 v67, v5, v4, s52                                // 000000008B88: D1ED0043 00D20905
	v_cmp_u_f32_e64 s[46:47], v76, v76                         // 000000008B90: D048002E 0002994C
	v_add3_u32 v16, v76, v19, 1                                // 000000008B98: D1FF0010 0206274C
	v_cndmask_b32_e64 v4, v16, v18, s[46:47]                   // 000000008BA0: D1000004 00BA2510
	v_cmp_u_f32_e64 s[46:47], v77, v77                         // 000000008BA8: D048002E 00029B4D
	v_add3_u32 v16, v77, v19, 1                                // 000000008BB0: D1FF0010 0206274D
	v_cndmask_b32_e64 v5, v16, v18, s[46:47]                   // 000000008BB8: D1000005 00BA2510
	v_perm_b32 v68, v5, v4, s52                                // 000000008BC0: D1ED0044 00D20905
	v_cmp_u_f32_e64 s[46:47], v78, v78                         // 000000008BC8: D048002E 00029D4E
	v_add3_u32 v16, v78, v19, 1                                // 000000008BD0: D1FF0010 0206274E
	v_cndmask_b32_e64 v4, v16, v18, s[46:47]                   // 000000008BD8: D1000004 00BA2510
	v_cmp_u_f32_e64 s[46:47], v79, v79                         // 000000008BE0: D048002E 00029F4F
	v_add3_u32 v16, v79, v19, 1                                // 000000008BE8: D1FF0010 0206274F
	v_cndmask_b32_e64 v5, v16, v18, s[46:47]                   // 000000008BF0: D1000005 00BA2510
	v_perm_b32 v69, v5, v4, s52                                // 000000008BF8: D1ED0045 00D20905
	v_cmp_u_f32_e64 s[46:47], v80, v80                         // 000000008C00: D048002E 0002A150
	v_add3_u32 v16, v80, v19, 1                                // 000000008C08: D1FF0010 02062750
	v_cndmask_b32_e64 v4, v16, v18, s[46:47]                   // 000000008C10: D1000004 00BA2510
	v_cmp_u_f32_e64 s[46:47], v81, v81                         // 000000008C18: D048002E 0002A351
	v_add3_u32 v16, v81, v19, 1                                // 000000008C20: D1FF0010 02062751
	v_cndmask_b32_e64 v5, v16, v18, s[46:47]                   // 000000008C28: D1000005 00BA2510
	v_perm_b32 v70, v5, v4, s52                                // 000000008C30: D1ED0046 00D20905
	v_cmp_u_f32_e64 s[46:47], v82, v82                         // 000000008C38: D048002E 0002A552
	v_add3_u32 v16, v82, v19, 1                                // 000000008C40: D1FF0010 02062752
	v_cndmask_b32_e64 v4, v16, v18, s[46:47]                   // 000000008C48: D1000004 00BA2510
	v_cmp_u_f32_e64 s[46:47], v83, v83                         // 000000008C50: D048002E 0002A753
	v_add3_u32 v16, v83, v19, 1                                // 000000008C58: D1FF0010 02062753
	v_cndmask_b32_e64 v5, v16, v18, s[46:47]                   // 000000008C60: D1000005 00BA2510
	v_perm_b32 v71, v5, v4, s52                                // 000000008C68: D1ED0047 00D20905
	v_cmp_u_f32_e64 s[46:47], v84, v84                         // 000000008C70: D048002E 0002A954
	v_add3_u32 v16, v84, v19, 1                                // 000000008C78: D1FF0010 02062754
	v_cndmask_b32_e64 v4, v16, v18, s[46:47]                   // 000000008C80: D1000004 00BA2510
	v_cmp_u_f32_e64 s[46:47], v85, v85                         // 000000008C88: D048002E 0002AB55
	v_add3_u32 v16, v85, v19, 1                                // 000000008C90: D1FF0010 02062755
	v_cndmask_b32_e64 v5, v16, v18, s[46:47]                   // 000000008C98: D1000005 00BA2510
	v_perm_b32 v72, v5, v4, s52                                // 000000008CA0: D1ED0048 00D20905
	v_cmp_u_f32_e64 s[46:47], v86, v86                         // 000000008CA8: D048002E 0002AD56
	v_add3_u32 v16, v86, v19, 1                                // 000000008CB0: D1FF0010 02062756
	v_cndmask_b32_e64 v4, v16, v18, s[46:47]                   // 000000008CB8: D1000004 00BA2510
	v_cmp_u_f32_e64 s[46:47], v87, v87                         // 000000008CC0: D048002E 0002AF57
	v_add3_u32 v16, v87, v19, 1                                // 000000008CC8: D1FF0010 02062757
	v_cndmask_b32_e64 v5, v16, v18, s[46:47]                   // 000000008CD0: D1000005 00BA2510
	v_perm_b32 v73, v5, v4, s52                                // 000000008CD8: D1ED0049 00D20905
	v_cmp_u_f32_e64 s[46:47], v88, v88                         // 000000008CE0: D048002E 0002B158
	v_add3_u32 v16, v88, v19, 1                                // 000000008CE8: D1FF0010 02062758
	v_cndmask_b32_e64 v4, v16, v18, s[46:47]                   // 000000008CF0: D1000004 00BA2510
	v_cmp_u_f32_e64 s[46:47], v89, v89                         // 000000008CF8: D048002E 0002B359
	v_add3_u32 v16, v89, v19, 1                                // 000000008D00: D1FF0010 02062759
	v_cndmask_b32_e64 v5, v16, v18, s[46:47]                   // 000000008D08: D1000005 00BA2510
	v_perm_b32 v74, v5, v4, s52                                // 000000008D10: D1ED004A 00D20905
	v_cmp_u_f32_e64 s[46:47], v90, v90                         // 000000008D18: D048002E 0002B55A
	v_add3_u32 v16, v90, v19, 1                                // 000000008D20: D1FF0010 0206275A
	v_cndmask_b32_e64 v4, v16, v18, s[46:47]                   // 000000008D28: D1000004 00BA2510
	v_cmp_u_f32_e64 s[46:47], v91, v91                         // 000000008D30: D048002E 0002B75B
	v_add3_u32 v16, v91, v19, 1                                // 000000008D38: D1FF0010 0206275B
	v_cndmask_b32_e64 v5, v16, v18, s[46:47]                   // 000000008D40: D1000005 00BA2510
	v_perm_b32 v75, v5, v4, s52                                // 000000008D48: D1ED004B 00D20905
	v_cmp_u_f32_e64 s[46:47], v92, v92                         // 000000008D50: D048002E 0002B95C
	v_add3_u32 v16, v92, v19, 1                                // 000000008D58: D1FF0010 0206275C
	v_cndmask_b32_e64 v4, v16, v18, s[46:47]                   // 000000008D60: D1000004 00BA2510
	v_cmp_u_f32_e64 s[46:47], v93, v93                         // 000000008D68: D048002E 0002BB5D
	v_add3_u32 v16, v93, v19, 1                                // 000000008D70: D1FF0010 0206275D
	v_cndmask_b32_e64 v5, v16, v18, s[46:47]                   // 000000008D78: D1000005 00BA2510
	v_perm_b32 v76, v5, v4, s52                                // 000000008D80: D1ED004C 00D20905
	v_cmp_u_f32_e64 s[46:47], v94, v94                         // 000000008D88: D048002E 0002BD5E
	v_add3_u32 v16, v94, v19, 1                                // 000000008D90: D1FF0010 0206275E
	v_cndmask_b32_e64 v4, v16, v18, s[46:47]                   // 000000008D98: D1000004 00BA2510
	v_cmp_u_f32_e64 s[46:47], v95, v95                         // 000000008DA0: D048002E 0002BF5F
	v_add3_u32 v16, v95, v19, 1                                // 000000008DA8: D1FF0010 0206275F
	v_cndmask_b32_e64 v5, v16, v18, s[46:47]                   // 000000008DB0: D1000005 00BA2510
	v_perm_b32 v77, v5, v4, s52                                // 000000008DB8: D1ED004D 00D20905
	v_cmp_u_f32_e64 s[46:47], v96, v96                         // 000000008DC0: D048002E 0002C160
	v_add3_u32 v16, v96, v19, 1                                // 000000008DC8: D1FF0010 02062760
	v_cndmask_b32_e64 v4, v16, v18, s[46:47]                   // 000000008DD0: D1000004 00BA2510
	v_cmp_u_f32_e64 s[46:47], v97, v97                         // 000000008DD8: D048002E 0002C361
	v_add3_u32 v16, v97, v19, 1                                // 000000008DE0: D1FF0010 02062761
	v_cndmask_b32_e64 v5, v16, v18, s[46:47]                   // 000000008DE8: D1000005 00BA2510
	v_perm_b32 v78, v5, v4, s52                                // 000000008DF0: D1ED004E 00D20905
	v_cmp_u_f32_e64 s[46:47], v98, v98                         // 000000008DF8: D048002E 0002C562
	v_add3_u32 v16, v98, v19, 1                                // 000000008E00: D1FF0010 02062762
	v_cndmask_b32_e64 v4, v16, v18, s[46:47]                   // 000000008E08: D1000004 00BA2510
	v_cmp_u_f32_e64 s[46:47], v99, v99                         // 000000008E10: D048002E 0002C763
	v_add3_u32 v16, v99, v19, 1                                // 000000008E18: D1FF0010 02062763
	v_cndmask_b32_e64 v5, v16, v18, s[46:47]                   // 000000008E20: D1000005 00BA2510
	v_perm_b32 v79, v5, v4, s52                                // 000000008E28: D1ED004F 00D20905
	v_cmp_u_f32_e64 s[46:47], v100, v100                       // 000000008E30: D048002E 0002C964
	v_add3_u32 v16, v100, v19, 1                               // 000000008E38: D1FF0010 02062764
	v_cndmask_b32_e64 v4, v16, v18, s[46:47]                   // 000000008E40: D1000004 00BA2510
	v_cmp_u_f32_e64 s[46:47], v101, v101                       // 000000008E48: D048002E 0002CB65
	v_add3_u32 v16, v101, v19, 1                               // 000000008E50: D1FF0010 02062765
	v_cndmask_b32_e64 v5, v16, v18, s[46:47]                   // 000000008E58: D1000005 00BA2510
	v_perm_b32 v80, v5, v4, s52                                // 000000008E60: D1ED0050 00D20905
	v_cmp_u_f32_e64 s[46:47], v102, v102                       // 000000008E68: D048002E 0002CD66
	v_add3_u32 v16, v102, v19, 1                               // 000000008E70: D1FF0010 02062766
	v_cndmask_b32_e64 v4, v16, v18, s[46:47]                   // 000000008E78: D1000004 00BA2510
	v_cmp_u_f32_e64 s[46:47], v103, v103                       // 000000008E80: D048002E 0002CF67
	v_add3_u32 v16, v103, v19, 1                               // 000000008E88: D1FF0010 02062767
	v_cndmask_b32_e64 v5, v16, v18, s[46:47]                   // 000000008E90: D1000005 00BA2510
	v_perm_b32 v81, v5, v4, s52                                // 000000008E98: D1ED0051 00D20905
	v_cmp_u_f32_e64 s[46:47], v104, v104                       // 000000008EA0: D048002E 0002D168
	v_add3_u32 v16, v104, v19, 1                               // 000000008EA8: D1FF0010 02062768
	v_cndmask_b32_e64 v4, v16, v18, s[46:47]                   // 000000008EB0: D1000004 00BA2510
	v_cmp_u_f32_e64 s[46:47], v105, v105                       // 000000008EB8: D048002E 0002D369
	v_add3_u32 v16, v105, v19, 1                               // 000000008EC0: D1FF0010 02062769
	v_cndmask_b32_e64 v5, v16, v18, s[46:47]                   // 000000008EC8: D1000005 00BA2510
	v_perm_b32 v82, v5, v4, s52                                // 000000008ED0: D1ED0052 00D20905
	v_cmp_u_f32_e64 s[46:47], v106, v106                       // 000000008ED8: D048002E 0002D56A
	v_add3_u32 v16, v106, v19, 1                               // 000000008EE0: D1FF0010 0206276A
	v_cndmask_b32_e64 v4, v16, v18, s[46:47]                   // 000000008EE8: D1000004 00BA2510
	v_cmp_u_f32_e64 s[46:47], v107, v107                       // 000000008EF0: D048002E 0002D76B
	v_add3_u32 v16, v107, v19, 1                               // 000000008EF8: D1FF0010 0206276B
	v_cndmask_b32_e64 v5, v16, v18, s[46:47]                   // 000000008F00: D1000005 00BA2510
	v_perm_b32 v83, v5, v4, s52                                // 000000008F08: D1ED0053 00D20905
	v_cmp_u_f32_e64 s[46:47], v108, v108                       // 000000008F10: D048002E 0002D96C
	v_add3_u32 v16, v108, v19, 1                               // 000000008F18: D1FF0010 0206276C
	v_cndmask_b32_e64 v4, v16, v18, s[46:47]                   // 000000008F20: D1000004 00BA2510
	v_cmp_u_f32_e64 s[46:47], v109, v109                       // 000000008F28: D048002E 0002DB6D
	v_add3_u32 v16, v109, v19, 1                               // 000000008F30: D1FF0010 0206276D
	v_cndmask_b32_e64 v5, v16, v18, s[46:47]                   // 000000008F38: D1000005 00BA2510
	v_perm_b32 v84, v5, v4, s52                                // 000000008F40: D1ED0054 00D20905
	v_cmp_u_f32_e64 s[46:47], v110, v110                       // 000000008F48: D048002E 0002DD6E
	v_add3_u32 v16, v110, v19, 1                               // 000000008F50: D1FF0010 0206276E
	v_cndmask_b32_e64 v4, v16, v18, s[46:47]                   // 000000008F58: D1000004 00BA2510
	v_cmp_u_f32_e64 s[46:47], v111, v111                       // 000000008F60: D048002E 0002DF6F
	v_add3_u32 v16, v111, v19, 1                               // 000000008F68: D1FF0010 0206276F
	v_cndmask_b32_e64 v5, v16, v18, s[46:47]                   // 000000008F70: D1000005 00BA2510
	v_perm_b32 v85, v5, v4, s52                                // 000000008F78: D1ED0055 00D20905
	v_cmp_u_f32_e64 s[46:47], v112, v112                       // 000000008F80: D048002E 0002E170
	v_add3_u32 v16, v112, v19, 1                               // 000000008F88: D1FF0010 02062770
	v_cndmask_b32_e64 v4, v16, v18, s[46:47]                   // 000000008F90: D1000004 00BA2510
	v_cmp_u_f32_e64 s[46:47], v113, v113                       // 000000008F98: D048002E 0002E371
	v_add3_u32 v16, v113, v19, 1                               // 000000008FA0: D1FF0010 02062771
	v_cndmask_b32_e64 v5, v16, v18, s[46:47]                   // 000000008FA8: D1000005 00BA2510
	v_perm_b32 v86, v5, v4, s52                                // 000000008FB0: D1ED0056 00D20905
	v_cmp_u_f32_e64 s[46:47], v114, v114                       // 000000008FB8: D048002E 0002E572
	v_add3_u32 v16, v114, v19, 1                               // 000000008FC0: D1FF0010 02062772
	v_cndmask_b32_e64 v4, v16, v18, s[46:47]                   // 000000008FC8: D1000004 00BA2510
	v_cmp_u_f32_e64 s[46:47], v115, v115                       // 000000008FD0: D048002E 0002E773
	v_add3_u32 v16, v115, v19, 1                               // 000000008FD8: D1FF0010 02062773
	v_cndmask_b32_e64 v5, v16, v18, s[46:47]                   // 000000008FE0: D1000005 00BA2510
	v_perm_b32 v87, v5, v4, s52                                // 000000008FE8: D1ED0057 00D20905
	v_cmp_u_f32_e64 s[46:47], v116, v116                       // 000000008FF0: D048002E 0002E974
	v_add3_u32 v16, v116, v19, 1                               // 000000008FF8: D1FF0010 02062774
	v_cndmask_b32_e64 v4, v16, v18, s[46:47]                   // 000000009000: D1000004 00BA2510
	v_cmp_u_f32_e64 s[46:47], v117, v117                       // 000000009008: D048002E 0002EB75
	v_add3_u32 v16, v117, v19, 1                               // 000000009010: D1FF0010 02062775
	v_cndmask_b32_e64 v5, v16, v18, s[46:47]                   // 000000009018: D1000005 00BA2510
	v_perm_b32 v88, v5, v4, s52                                // 000000009020: D1ED0058 00D20905
	v_cmp_u_f32_e64 s[46:47], v118, v118                       // 000000009028: D048002E 0002ED76
	v_add3_u32 v16, v118, v19, 1                               // 000000009030: D1FF0010 02062776
	v_cndmask_b32_e64 v4, v16, v18, s[46:47]                   // 000000009038: D1000004 00BA2510
	v_cmp_u_f32_e64 s[46:47], v119, v119                       // 000000009040: D048002E 0002EF77
	v_add3_u32 v16, v119, v19, 1                               // 000000009048: D1FF0010 02062777
	v_cndmask_b32_e64 v5, v16, v18, s[46:47]                   // 000000009050: D1000005 00BA2510
	v_perm_b32 v89, v5, v4, s52                                // 000000009058: D1ED0059 00D20905
	v_cmp_u_f32_e64 s[46:47], v120, v120                       // 000000009060: D048002E 0002F178
	v_add3_u32 v16, v120, v19, 1                               // 000000009068: D1FF0010 02062778
	v_cndmask_b32_e64 v4, v16, v18, s[46:47]                   // 000000009070: D1000004 00BA2510
	v_cmp_u_f32_e64 s[46:47], v121, v121                       // 000000009078: D048002E 0002F379
	v_add3_u32 v16, v121, v19, 1                               // 000000009080: D1FF0010 02062779
	v_cndmask_b32_e64 v5, v16, v18, s[46:47]                   // 000000009088: D1000005 00BA2510
	v_perm_b32 v90, v5, v4, s52                                // 000000009090: D1ED005A 00D20905
	v_cmp_u_f32_e64 s[46:47], v122, v122                       // 000000009098: D048002E 0002F57A
	v_add3_u32 v16, v122, v19, 1                               // 0000000090A0: D1FF0010 0206277A
	v_cndmask_b32_e64 v4, v16, v18, s[46:47]                   // 0000000090A8: D1000004 00BA2510
	v_cmp_u_f32_e64 s[46:47], v123, v123                       // 0000000090B0: D048002E 0002F77B
	v_add3_u32 v16, v123, v19, 1                               // 0000000090B8: D1FF0010 0206277B
	v_cndmask_b32_e64 v5, v16, v18, s[46:47]                   // 0000000090C0: D1000005 00BA2510
	v_perm_b32 v91, v5, v4, s52                                // 0000000090C8: D1ED005B 00D20905
	v_cmp_u_f32_e64 s[46:47], v124, v124                       // 0000000090D0: D048002E 0002F97C
	v_add3_u32 v16, v124, v19, 1                               // 0000000090D8: D1FF0010 0206277C
	v_cndmask_b32_e64 v4, v16, v18, s[46:47]                   // 0000000090E0: D1000004 00BA2510
	v_cmp_u_f32_e64 s[46:47], v125, v125                       // 0000000090E8: D048002E 0002FB7D
	v_add3_u32 v16, v125, v19, 1                               // 0000000090F0: D1FF0010 0206277D
	v_cndmask_b32_e64 v5, v16, v18, s[46:47]                   // 0000000090F8: D1000005 00BA2510
	v_perm_b32 v92, v5, v4, s52                                // 000000009100: D1ED005C 00D20905
	v_cmp_u_f32_e64 s[46:47], v126, v126                       // 000000009108: D048002E 0002FD7E
	v_add3_u32 v16, v126, v19, 1                               // 000000009110: D1FF0010 0206277E
	v_cndmask_b32_e64 v4, v16, v18, s[46:47]                   // 000000009118: D1000004 00BA2510
	v_cmp_u_f32_e64 s[46:47], v127, v127                       // 000000009120: D048002E 0002FF7F
	v_add3_u32 v16, v127, v19, 1                               // 000000009128: D1FF0010 0206277F
	v_cndmask_b32_e64 v5, v16, v18, s[46:47]                   // 000000009130: D1000005 00BA2510
	v_perm_b32 v93, v5, v4, s52                                // 000000009138: D1ED005D 00D20905
	v_cmp_u_f32_e64 s[46:47], v128, v128                       // 000000009140: D048002E 00030180
	v_add3_u32 v16, v128, v19, 1                               // 000000009148: D1FF0010 02062780
	v_cndmask_b32_e64 v4, v16, v18, s[46:47]                   // 000000009150: D1000004 00BA2510
	v_cmp_u_f32_e64 s[46:47], v129, v129                       // 000000009158: D048002E 00030381
	v_add3_u32 v16, v129, v19, 1                               // 000000009160: D1FF0010 02062781
	v_cndmask_b32_e64 v5, v16, v18, s[46:47]                   // 000000009168: D1000005 00BA2510
	v_perm_b32 v94, v5, v4, s52                                // 000000009170: D1ED005E 00D20905
	v_cmp_u_f32_e64 s[46:47], v130, v130                       // 000000009178: D048002E 00030582
	v_add3_u32 v16, v130, v19, 1                               // 000000009180: D1FF0010 02062782
	v_cndmask_b32_e64 v4, v16, v18, s[46:47]                   // 000000009188: D1000004 00BA2510
	v_cmp_u_f32_e64 s[46:47], v131, v131                       // 000000009190: D048002E 00030783
	v_add3_u32 v16, v131, v19, 1                               // 000000009198: D1FF0010 02062783
	v_cndmask_b32_e64 v5, v16, v18, s[46:47]                   // 0000000091A0: D1000005 00BA2510
	v_perm_b32 v95, v5, v4, s52                                // 0000000091A8: D1ED005F 00D20905
	v_cmp_u_f32_e64 s[46:47], v132, v132                       // 0000000091B0: D048002E 00030984
	v_add3_u32 v16, v132, v19, 1                               // 0000000091B8: D1FF0010 02062784
	v_cndmask_b32_e64 v4, v16, v18, s[46:47]                   // 0000000091C0: D1000004 00BA2510
	v_cmp_u_f32_e64 s[46:47], v133, v133                       // 0000000091C8: D048002E 00030B85
	v_add3_u32 v16, v133, v19, 1                               // 0000000091D0: D1FF0010 02062785
	v_cndmask_b32_e64 v5, v16, v18, s[46:47]                   // 0000000091D8: D1000005 00BA2510
	v_perm_b32 v96, v5, v4, s52                                // 0000000091E0: D1ED0060 00D20905
	v_cmp_u_f32_e64 s[46:47], v134, v134                       // 0000000091E8: D048002E 00030D86
	v_add3_u32 v16, v134, v19, 1                               // 0000000091F0: D1FF0010 02062786
	v_cndmask_b32_e64 v4, v16, v18, s[46:47]                   // 0000000091F8: D1000004 00BA2510
	v_cmp_u_f32_e64 s[46:47], v135, v135                       // 000000009200: D048002E 00030F87
	v_add3_u32 v16, v135, v19, 1                               // 000000009208: D1FF0010 02062787
	v_cndmask_b32_e64 v5, v16, v18, s[46:47]                   // 000000009210: D1000005 00BA2510
	v_perm_b32 v97, v5, v4, s52                                // 000000009218: D1ED0061 00D20905
	v_cmp_u_f32_e64 s[46:47], v136, v136                       // 000000009220: D048002E 00031188
	v_add3_u32 v16, v136, v19, 1                               // 000000009228: D1FF0010 02062788
	v_cndmask_b32_e64 v4, v16, v18, s[46:47]                   // 000000009230: D1000004 00BA2510
	v_cmp_u_f32_e64 s[46:47], v137, v137                       // 000000009238: D048002E 00031389
	v_add3_u32 v16, v137, v19, 1                               // 000000009240: D1FF0010 02062789
	v_cndmask_b32_e64 v5, v16, v18, s[46:47]                   // 000000009248: D1000005 00BA2510
	v_perm_b32 v98, v5, v4, s52                                // 000000009250: D1ED0062 00D20905
	v_cmp_u_f32_e64 s[46:47], v138, v138                       // 000000009258: D048002E 0003158A
	v_add3_u32 v16, v138, v19, 1                               // 000000009260: D1FF0010 0206278A
	v_cndmask_b32_e64 v4, v16, v18, s[46:47]                   // 000000009268: D1000004 00BA2510
	v_cmp_u_f32_e64 s[46:47], v139, v139                       // 000000009270: D048002E 0003178B
	v_add3_u32 v16, v139, v19, 1                               // 000000009278: D1FF0010 0206278B
	v_cndmask_b32_e64 v5, v16, v18, s[46:47]                   // 000000009280: D1000005 00BA2510
	v_perm_b32 v99, v5, v4, s52                                // 000000009288: D1ED0063 00D20905
	v_cmp_u_f32_e64 s[46:47], v140, v140                       // 000000009290: D048002E 0003198C
	v_add3_u32 v16, v140, v19, 1                               // 000000009298: D1FF0010 0206278C
	v_cndmask_b32_e64 v4, v16, v18, s[46:47]                   // 0000000092A0: D1000004 00BA2510
	v_cmp_u_f32_e64 s[46:47], v141, v141                       // 0000000092A8: D048002E 00031B8D
	v_add3_u32 v16, v141, v19, 1                               // 0000000092B0: D1FF0010 0206278D
	v_cndmask_b32_e64 v5, v16, v18, s[46:47]                   // 0000000092B8: D1000005 00BA2510
	v_perm_b32 v100, v5, v4, s52                               // 0000000092C0: D1ED0064 00D20905
	v_cmp_u_f32_e64 s[46:47], v142, v142                       // 0000000092C8: D048002E 00031D8E
	v_add3_u32 v16, v142, v19, 1                               // 0000000092D0: D1FF0010 0206278E
	v_cndmask_b32_e64 v4, v16, v18, s[46:47]                   // 0000000092D8: D1000004 00BA2510
	v_cmp_u_f32_e64 s[46:47], v143, v143                       // 0000000092E0: D048002E 00031F8F
	v_add3_u32 v16, v143, v19, 1                               // 0000000092E8: D1FF0010 0206278F
	v_cndmask_b32_e64 v5, v16, v18, s[46:47]                   // 0000000092F0: D1000005 00BA2510
	v_perm_b32 v101, v5, v4, s52                               // 0000000092F8: D1ED0065 00D20905
	v_cmp_u_f32_e64 s[46:47], v144, v144                       // 000000009300: D048002E 00032190
	v_add3_u32 v16, v144, v19, 1                               // 000000009308: D1FF0010 02062790
	v_cndmask_b32_e64 v4, v16, v18, s[46:47]                   // 000000009310: D1000004 00BA2510
	v_cmp_u_f32_e64 s[46:47], v145, v145                       // 000000009318: D048002E 00032391
	v_add3_u32 v16, v145, v19, 1                               // 000000009320: D1FF0010 02062791
	v_cndmask_b32_e64 v5, v16, v18, s[46:47]                   // 000000009328: D1000005 00BA2510
	v_perm_b32 v102, v5, v4, s52                               // 000000009330: D1ED0066 00D20905
	v_cmp_u_f32_e64 s[46:47], v146, v146                       // 000000009338: D048002E 00032592
	v_add3_u32 v16, v146, v19, 1                               // 000000009340: D1FF0010 02062792
	v_cndmask_b32_e64 v4, v16, v18, s[46:47]                   // 000000009348: D1000004 00BA2510
	v_cmp_u_f32_e64 s[46:47], v147, v147                       // 000000009350: D048002E 00032793
	v_add3_u32 v16, v147, v19, 1                               // 000000009358: D1FF0010 02062793
	v_cndmask_b32_e64 v5, v16, v18, s[46:47]                   // 000000009360: D1000005 00BA2510
	v_perm_b32 v103, v5, v4, s52                               // 000000009368: D1ED0067 00D20905
	v_cmp_u_f32_e64 s[46:47], v148, v148                       // 000000009370: D048002E 00032994
	v_add3_u32 v16, v148, v19, 1                               // 000000009378: D1FF0010 02062794
	v_cndmask_b32_e64 v4, v16, v18, s[46:47]                   // 000000009380: D1000004 00BA2510
	v_cmp_u_f32_e64 s[46:47], v149, v149                       // 000000009388: D048002E 00032B95
	v_add3_u32 v16, v149, v19, 1                               // 000000009390: D1FF0010 02062795
	v_cndmask_b32_e64 v5, v16, v18, s[46:47]                   // 000000009398: D1000005 00BA2510
	v_perm_b32 v104, v5, v4, s52                               // 0000000093A0: D1ED0068 00D20905
	v_cmp_u_f32_e64 s[46:47], v150, v150                       // 0000000093A8: D048002E 00032D96
	v_add3_u32 v16, v150, v19, 1                               // 0000000093B0: D1FF0010 02062796
	v_cndmask_b32_e64 v4, v16, v18, s[46:47]                   // 0000000093B8: D1000004 00BA2510
	v_cmp_u_f32_e64 s[46:47], v151, v151                       // 0000000093C0: D048002E 00032F97
	v_add3_u32 v16, v151, v19, 1                               // 0000000093C8: D1FF0010 02062797
	v_cndmask_b32_e64 v5, v16, v18, s[46:47]                   // 0000000093D0: D1000005 00BA2510
	v_perm_b32 v105, v5, v4, s52                               // 0000000093D8: D1ED0069 00D20905
	v_cmp_u_f32_e64 s[46:47], v152, v152                       // 0000000093E0: D048002E 00033198
	v_add3_u32 v16, v152, v19, 1                               // 0000000093E8: D1FF0010 02062798
	v_cndmask_b32_e64 v4, v16, v18, s[46:47]                   // 0000000093F0: D1000004 00BA2510
	v_cmp_u_f32_e64 s[46:47], v153, v153                       // 0000000093F8: D048002E 00033399
	v_add3_u32 v16, v153, v19, 1                               // 000000009400: D1FF0010 02062799
	v_cndmask_b32_e64 v5, v16, v18, s[46:47]                   // 000000009408: D1000005 00BA2510
	v_perm_b32 v106, v5, v4, s52                               // 000000009410: D1ED006A 00D20905
	v_cmp_u_f32_e64 s[46:47], v154, v154                       // 000000009418: D048002E 0003359A
	v_add3_u32 v16, v154, v19, 1                               // 000000009420: D1FF0010 0206279A
	v_cndmask_b32_e64 v4, v16, v18, s[46:47]                   // 000000009428: D1000004 00BA2510
	v_cmp_u_f32_e64 s[46:47], v155, v155                       // 000000009430: D048002E 0003379B
	v_add3_u32 v16, v155, v19, 1                               // 000000009438: D1FF0010 0206279B
	v_cndmask_b32_e64 v5, v16, v18, s[46:47]                   // 000000009440: D1000005 00BA2510
	v_perm_b32 v107, v5, v4, s52                               // 000000009448: D1ED006B 00D20905
	ds_write_b64 v20, v[60:61]                                 // 000000009450: D89A0000 00003C14
	ds_write_b64 v20, v[62:63] offset:17408                    // 000000009458: D89A4400 00003E14
	ds_write_b64 v20, v[64:65] offset:34816                    // 000000009460: D89A8800 00004014
	ds_write_b64 v20, v[66:67] offset:2176                     // 000000009468: D89A0880 00004214
	ds_write_b64 v20, v[68:69] offset:19584                    // 000000009470: D89A4C80 00004414
	ds_write_b64 v20, v[70:71] offset:36992                    // 000000009478: D89A9080 00004614
	ds_write_b64 v20, v[72:73] offset:4352                     // 000000009480: D89A1100 00004814
	ds_write_b64 v20, v[74:75] offset:21760                    // 000000009488: D89A5500 00004A14
	ds_write_b64 v20, v[76:77] offset:39168                    // 000000009490: D89A9900 00004C14
	ds_write_b64 v20, v[78:79] offset:6528                     // 000000009498: D89A1980 00004E14
	ds_write_b64 v20, v[80:81] offset:23936                    // 0000000094A0: D89A5D80 00005014
	ds_write_b64 v20, v[82:83] offset:41344                    // 0000000094A8: D89AA180 00005214
	ds_write_b64 v20, v[84:85] offset:8704                     // 0000000094B0: D89A2200 00005414
	ds_write_b64 v20, v[86:87] offset:26112                    // 0000000094B8: D89A6600 00005614
	ds_write_b64 v20, v[88:89] offset:43520                    // 0000000094C0: D89AAA00 00005814
	ds_write_b64 v20, v[90:91] offset:10880                    // 0000000094C8: D89A2A80 00005A14
	ds_write_b64 v20, v[92:93] offset:28288                    // 0000000094D0: D89A6E80 00005C14
	ds_write_b64 v20, v[94:95] offset:45696                    // 0000000094D8: D89AB280 00005E14
	ds_write_b64 v20, v[96:97] offset:13056                    // 0000000094E0: D89A3300 00006014
	ds_write_b64 v20, v[98:99] offset:30464                    // 0000000094E8: D89A7700 00006214
	ds_write_b64 v20, v[100:101] offset:47872                  // 0000000094F0: D89ABB00 00006414
	ds_write_b64 v20, v[102:103] offset:15232                  // 0000000094F8: D89A3B80 00006614
	ds_write_b64 v20, v[104:105] offset:32640                  // 000000009500: D89A7F80 00006814
	ds_write_b64 v20, v[106:107] offset:50048                  // 000000009508: D89AC380 00006A14
	v_lshrrev_b32_e32 v4, 5, v0                                // 000000009510: 20080085
	v_xor_b32_e32 v5, 1, v4                                    // 000000009514: 2A0A0881
	s_mul_i32 s60, s65, 2                                      // 000000009518: 923C8241
	s_cmp_eq_u32 s88, 0                                        // 00000000951C: BF068058
	s_cselect_b32 s61, 1, 4                                    // 000000009520: 853D8481
	s_mul_i32 s60, s61, s60                                    // 000000009524: 923C3C3D
	v_readlane_b32 s82, v3, 0                                  // 000000009528: D2890052 00010103
	s_lshr_b32 s61, s82, 24                                    // 000000009530: 8F3D9852
	s_and_b32 s82, s82, 0xffffff                               // 000000009534: 8652FF52 00FFFFFF
	s_mul_i32 s82, s82, s71                                    // 00000000953C: 92524752
	s_mul_i32 s61, s60, s61                                    // 000000009540: 923D3D3C
	s_add_u32 s82, s82, s61                                    // 000000009544: 80523D52
	v_mul_lo_u32 v6, v5, s82                                   // 000000009548: D2850006 0000A505
	v_readlane_b32 s82, v3, 1                                  // 000000009550: D2890052 00010303
	s_lshr_b32 s61, s82, 24                                    // 000000009558: 8F3D9852
	s_and_b32 s82, s82, 0xffffff                               // 00000000955C: 8652FF52 00FFFFFF
	s_mul_i32 s82, s82, s71                                    // 000000009564: 92524752
	s_mul_i32 s61, s60, s61                                    // 000000009568: 923D3D3C
	s_add_u32 s82, s82, s61                                    // 00000000956C: 80523D52
	v_mul_lo_u32 v7, v4, s82                                   // 000000009570: D2850007 0000A504
	v_add_u32_e32 v43, v6, v7                                  // 000000009578: 68560F06
	v_readlane_b32 s82, v3, 2                                  // 00000000957C: D2890052 00010503
	s_lshr_b32 s61, s82, 24                                    // 000000009584: 8F3D9852
	s_and_b32 s82, s82, 0xffffff                               // 000000009588: 8652FF52 00FFFFFF
	s_mul_i32 s82, s82, s71                                    // 000000009590: 92524752
	s_mul_i32 s61, s60, s61                                    // 000000009594: 923D3D3C
	s_add_u32 s82, s82, s61                                    // 000000009598: 80523D52
	v_mul_lo_u32 v6, v5, s82                                   // 00000000959C: D2850006 0000A505
	v_readlane_b32 s82, v3, 3                                  // 0000000095A4: D2890052 00010703
	s_lshr_b32 s61, s82, 24                                    // 0000000095AC: 8F3D9852
	s_and_b32 s82, s82, 0xffffff                               // 0000000095B0: 8652FF52 00FFFFFF
	s_mul_i32 s82, s82, s71                                    // 0000000095B8: 92524752
	s_mul_i32 s61, s60, s61                                    // 0000000095BC: 923D3D3C
	s_add_u32 s82, s82, s61                                    // 0000000095C0: 80523D52
	v_mul_lo_u32 v7, v4, s82                                   // 0000000095C4: D2850007 0000A504
	v_add_u32_e32 v44, v6, v7                                  // 0000000095CC: 68580F06
	v_readlane_b32 s82, v3, 4                                  // 0000000095D0: D2890052 00010903
	s_lshr_b32 s61, s82, 24                                    // 0000000095D8: 8F3D9852
	s_and_b32 s82, s82, 0xffffff                               // 0000000095DC: 8652FF52 00FFFFFF
	s_mul_i32 s82, s82, s71                                    // 0000000095E4: 92524752
	s_mul_i32 s61, s60, s61                                    // 0000000095E8: 923D3D3C
	s_add_u32 s82, s82, s61                                    // 0000000095EC: 80523D52
	v_mul_lo_u32 v6, v5, s82                                   // 0000000095F0: D2850006 0000A505
	v_readlane_b32 s82, v3, 5                                  // 0000000095F8: D2890052 00010B03
	s_lshr_b32 s61, s82, 24                                    // 000000009600: 8F3D9852
	s_and_b32 s82, s82, 0xffffff                               // 000000009604: 8652FF52 00FFFFFF
	s_mul_i32 s82, s82, s71                                    // 00000000960C: 92524752
	s_mul_i32 s61, s60, s61                                    // 000000009610: 923D3D3C
	s_add_u32 s82, s82, s61                                    // 000000009614: 80523D52
	v_mul_lo_u32 v7, v4, s82                                   // 000000009618: D2850007 0000A504
	v_add_u32_e32 v45, v6, v7                                  // 000000009620: 685A0F06
	v_readlane_b32 s82, v3, 6                                  // 000000009624: D2890052 00010D03
	s_lshr_b32 s61, s82, 24                                    // 00000000962C: 8F3D9852
	s_and_b32 s82, s82, 0xffffff                               // 000000009630: 8652FF52 00FFFFFF
	s_mul_i32 s82, s82, s71                                    // 000000009638: 92524752
	s_mul_i32 s61, s60, s61                                    // 00000000963C: 923D3D3C
	s_add_u32 s82, s82, s61                                    // 000000009640: 80523D52
	v_mul_lo_u32 v6, v5, s82                                   // 000000009644: D2850006 0000A505
	v_readlane_b32 s82, v3, 7                                  // 00000000964C: D2890052 00010F03
	s_lshr_b32 s61, s82, 24                                    // 000000009654: 8F3D9852
	s_and_b32 s82, s82, 0xffffff                               // 000000009658: 8652FF52 00FFFFFF
	s_mul_i32 s82, s82, s71                                    // 000000009660: 92524752
	s_mul_i32 s61, s60, s61                                    // 000000009664: 923D3D3C
	s_add_u32 s82, s82, s61                                    // 000000009668: 80523D52
	v_mul_lo_u32 v7, v4, s82                                   // 00000000966C: D2850007 0000A504
	v_add_u32_e32 v46, v6, v7                                  // 000000009674: 685C0F06
	v_readlane_b32 s82, v3, 8                                  // 000000009678: D2890052 00011103
	s_lshr_b32 s61, s82, 24                                    // 000000009680: 8F3D9852
	s_and_b32 s82, s82, 0xffffff                               // 000000009684: 8652FF52 00FFFFFF
	s_mul_i32 s82, s82, s71                                    // 00000000968C: 92524752
	s_mul_i32 s61, s60, s61                                    // 000000009690: 923D3D3C
	s_add_u32 s82, s82, s61                                    // 000000009694: 80523D52
	v_mul_lo_u32 v6, v5, s82                                   // 000000009698: D2850006 0000A505
	v_readlane_b32 s82, v3, 9                                  // 0000000096A0: D2890052 00011303
	s_lshr_b32 s61, s82, 24                                    // 0000000096A8: 8F3D9852
	s_and_b32 s82, s82, 0xffffff                               // 0000000096AC: 8652FF52 00FFFFFF
	s_mul_i32 s82, s82, s71                                    // 0000000096B4: 92524752
	s_mul_i32 s61, s60, s61                                    // 0000000096B8: 923D3D3C
	s_add_u32 s82, s82, s61                                    // 0000000096BC: 80523D52
	v_mul_lo_u32 v7, v4, s82                                   // 0000000096C0: D2850007 0000A504
	v_add_u32_e32 v47, v6, v7                                  // 0000000096C8: 685E0F06
	v_readlane_b32 s82, v3, 10                                 // 0000000096CC: D2890052 00011503
	s_lshr_b32 s61, s82, 24                                    // 0000000096D4: 8F3D9852
	s_and_b32 s82, s82, 0xffffff                               // 0000000096D8: 8652FF52 00FFFFFF
	s_mul_i32 s82, s82, s71                                    // 0000000096E0: 92524752
	s_mul_i32 s61, s60, s61                                    // 0000000096E4: 923D3D3C
	s_add_u32 s82, s82, s61                                    // 0000000096E8: 80523D52
	v_mul_lo_u32 v6, v5, s82                                   // 0000000096EC: D2850006 0000A505
	v_readlane_b32 s82, v3, 11                                 // 0000000096F4: D2890052 00011703
	s_lshr_b32 s61, s82, 24                                    // 0000000096FC: 8F3D9852
	s_and_b32 s82, s82, 0xffffff                               // 000000009700: 8652FF52 00FFFFFF
	s_mul_i32 s82, s82, s71                                    // 000000009708: 92524752
	s_mul_i32 s61, s60, s61                                    // 00000000970C: 923D3D3C
	s_add_u32 s82, s82, s61                                    // 000000009710: 80523D52
	v_mul_lo_u32 v7, v4, s82                                   // 000000009714: D2850007 0000A504
	v_add_u32_e32 v48, v6, v7                                  // 00000000971C: 68600F06
	v_and_b32_e32 v4, 31, v0                                   // 000000009720: 2608009F
	v_lshrrev_b32_e32 v4, 1, v4                                // 000000009724: 20080881
	s_cmp_eq_u32 s88, 0                                        // 000000009728: BF068058
	s_cselect_b32 s61, 2, 4                                    // 00000000972C: 853D8482
	v_mul_lo_u32 v4, v4, s61                                   // 000000009730: D2850004 00007B04
	v_and_b32_e64 v5, v0, 1                                    // 000000009738: D1130005 00010300
	v_add_u32_e32 v4, v4, v5                                   // 000000009740: 68080B04
	v_lshlrev_b32_e32 v4, 2, v4                                // 000000009744: 24080882
	v_add_u32_e32 v43, v43, v4                                 // 000000009748: 6856092B
	v_add_u32_e32 v44, v44, v4                                 // 00000000974C: 6858092C
	v_add_u32_e32 v45, v45, v4                                 // 000000009750: 685A092D
	v_add_u32_e32 v46, v46, v4                                 // 000000009754: 685C092E
	v_add_u32_e32 v47, v47, v4                                 // 000000009758: 685E092F
	v_add_u32_e32 v48, v48, v4                                 // 00000000975C: 68600930
	s_waitcnt lgkmcnt(0)                                       // 000000009760: BF8CC07F
	s_barrier                                                  // 000000009764: BF8A0000
	ds_read_b32 v60, v21                                       // 000000009768: D86C0000 3C000015
	ds_read_b32 v61, v21 offset:64                             // 000000009770: D86C0040 3D000015
	ds_read_b32 v62, v21 offset:2176                           // 000000009778: D86C0880 3E000015
	ds_read_b32 v63, v21 offset:2240                           // 000000009780: D86C08C0 3F000015
	ds_read_b32 v64, v21 offset:4352                           // 000000009788: D86C1100 40000015
	ds_read_b32 v65, v21 offset:4416                           // 000000009790: D86C1140 41000015
	ds_read_b32 v66, v21 offset:6528                           // 000000009798: D86C1980 42000015
	ds_read_b32 v67, v21 offset:6592                           // 0000000097A0: D86C19C0 43000015
	ds_read_b32 v68, v21 offset:8704                           // 0000000097A8: D86C2200 44000015
	ds_read_b32 v69, v21 offset:8768                           // 0000000097B0: D86C2240 45000015
	ds_read_b32 v70, v21 offset:10880                          // 0000000097B8: D86C2A80 46000015
	ds_read_b32 v71, v21 offset:10944                          // 0000000097C0: D86C2AC0 47000015
	ds_read_b32 v72, v21 offset:13056                          // 0000000097C8: D86C3300 48000015
	ds_read_b32 v73, v21 offset:13120                          // 0000000097D0: D86C3340 49000015
	ds_read_b32 v74, v21 offset:15232                          // 0000000097D8: D86C3B80 4A000015
	ds_read_b32 v75, v21 offset:15296                          // 0000000097E0: D86C3BC0 4B000015
	ds_read_b32 v76, v21 offset:17408                          // 0000000097E8: D86C4400 4C000015
	ds_read_b32 v77, v21 offset:17472                          // 0000000097F0: D86C4440 4D000015
	ds_read_b32 v78, v21 offset:19584                          // 0000000097F8: D86C4C80 4E000015
	ds_read_b32 v79, v21 offset:19648                          // 000000009800: D86C4CC0 4F000015
	ds_read_b32 v80, v21 offset:21760                          // 000000009808: D86C5500 50000015
	ds_read_b32 v81, v21 offset:21824                          // 000000009810: D86C5540 51000015
	ds_read_b32 v82, v21 offset:23936                          // 000000009818: D86C5D80 52000015
	ds_read_b32 v83, v21 offset:24000                          // 000000009820: D86C5DC0 53000015
	ds_read_b32 v84, v21 offset:26112                          // 000000009828: D86C6600 54000015
	ds_read_b32 v85, v21 offset:26176                          // 000000009830: D86C6640 55000015
	ds_read_b32 v86, v21 offset:28288                          // 000000009838: D86C6E80 56000015
	ds_read_b32 v87, v21 offset:28352                          // 000000009840: D86C6EC0 57000015
	ds_read_b32 v88, v21 offset:30464                          // 000000009848: D86C7700 58000015
	ds_read_b32 v89, v21 offset:30528                          // 000000009850: D86C7740 59000015
	ds_read_b32 v90, v21 offset:32640                          // 000000009858: D86C7F80 5A000015
	ds_read_b32 v91, v21 offset:32704                          // 000000009860: D86C7FC0 5B000015
	ds_read_b32 v92, v21 offset:34816                          // 000000009868: D86C8800 5C000015
	ds_read_b32 v93, v21 offset:34880                          // 000000009870: D86C8840 5D000015
	ds_read_b32 v94, v21 offset:36992                          // 000000009878: D86C9080 5E000015
	ds_read_b32 v95, v21 offset:37056                          // 000000009880: D86C90C0 5F000015
	ds_read_b32 v96, v21 offset:39168                          // 000000009888: D86C9900 60000015
	ds_read_b32 v97, v21 offset:39232                          // 000000009890: D86C9940 61000015
	ds_read_b32 v98, v21 offset:41344                          // 000000009898: D86CA180 62000015
	ds_read_b32 v99, v21 offset:41408                          // 0000000098A0: D86CA1C0 63000015
	ds_read_b32 v100, v21 offset:43520                         // 0000000098A8: D86CAA00 64000015
	ds_read_b32 v101, v21 offset:43584                         // 0000000098B0: D86CAA40 65000015
	ds_read_b32 v102, v21 offset:45696                         // 0000000098B8: D86CB280 66000015
	ds_read_b32 v103, v21 offset:45760                         // 0000000098C0: D86CB2C0 67000015
	ds_read_b32 v104, v21 offset:47872                         // 0000000098C8: D86CBB00 68000015
	ds_read_b32 v105, v21 offset:47936                         // 0000000098D0: D86CBB40 69000015
	ds_read_b32 v106, v21 offset:50048                         // 0000000098D8: D86CC380 6A000015
	ds_read_b32 v107, v21 offset:50112                         // 0000000098E0: D86CC3C0 6B000015
	s_waitcnt lgkmcnt(0)                                       // 0000000098E8: BF8CC07F
	s_mov_b32 s36, -1                                          // 0000000098EC: BEA400C1
	s_mov_b32 s37, -1                                          // 0000000098F0: BEA500C1
	v_mov_b32_e32 v7, 0                                        // 0000000098F4: 7E0E0280
	s_or_b32 s9, s9, 0x40000                                   // 0000000098F8: 8709FF09 00040000
	s_mov_b64 exec, s[36:37]                                   // 000000009900: BEFE0124
	v_mov_b32_e32 v6, v43                                      // 000000009904: 7E0C032B
	s_mov_b64 s[60:61], 0                                      // 000000009908: BEBC0180
	v_readlane_b32 s82, v3, 0                                  // 00000000990C: D2890052 00010103
	s_and_b32 s82, s82, 0xffffff                               // 000000009914: 8652FF52 00FFFFFF
	s_cmp_lt_u32 s82, s66                                      // 00000000991C: BF0A4252
	s_cselect_b32 s20, s36, s60                                // 000000009920: 85143C24
	v_readlane_b32 s82, v3, 1                                  // 000000009924: D2890052 00010303
	s_and_b32 s82, s82, 0xffffff                               // 00000000992C: 8652FF52 00FFFFFF
	s_cmp_lt_u32 s82, s66                                      // 000000009934: BF0A4252
	s_cselect_b32 s21, s36, s60                                // 000000009938: 85153C24
	s_mov_b64 exec, s[20:21]                                   // 00000000993C: BEFE0114
	buffer_store_dword v60, v6, s[8:11], 0 offen               // 000000009940: E0701000 80023C06
	buffer_store_dword v62, v6, s[8:11], 0 offen offset:128    // 000000009948: E0701080 80023E06
	buffer_store_dword v64, v6, s[8:11], 0 offen offset:256    // 000000009950: E0701100 80024006
	buffer_store_dword v66, v6, s[8:11], 0 offen offset:384    // 000000009958: E0701180 80024206
	buffer_store_dword v68, v6, s[8:11], 0 offen offset:512    // 000000009960: E0701200 80024406
	buffer_store_dword v70, v6, s[8:11], 0 offen offset:640    // 000000009968: E0701280 80024606
	buffer_store_dword v72, v6, s[8:11], 0 offen offset:768    // 000000009970: E0701300 80024806
	buffer_store_dword v74, v6, s[8:11], 0 offen offset:896    // 000000009978: E0701380 80024A06
	s_mov_b64 exec, s[36:37]                                   // 000000009980: BEFE0124
	v_mov_b32_e32 v6, v44                                      // 000000009984: 7E0C032C
	s_mov_b64 s[60:61], 0                                      // 000000009988: BEBC0180
	v_readlane_b32 s82, v3, 2                                  // 00000000998C: D2890052 00010503
	s_and_b32 s82, s82, 0xffffff                               // 000000009994: 8652FF52 00FFFFFF
	s_cmp_lt_u32 s82, s66                                      // 00000000999C: BF0A4252
	s_cselect_b32 s20, s36, s60                                // 0000000099A0: 85143C24
	v_readlane_b32 s82, v3, 3                                  // 0000000099A4: D2890052 00010703
	s_and_b32 s82, s82, 0xffffff                               // 0000000099AC: 8652FF52 00FFFFFF
	s_cmp_lt_u32 s82, s66                                      // 0000000099B4: BF0A4252
	s_cselect_b32 s21, s36, s60                                // 0000000099B8: 85153C24
	s_mov_b64 exec, s[20:21]                                   // 0000000099BC: BEFE0114
	buffer_store_dword v61, v6, s[8:11], 0 offen               // 0000000099C0: E0701000 80023D06
	buffer_store_dword v63, v6, s[8:11], 0 offen offset:128    // 0000000099C8: E0701080 80023F06
	buffer_store_dword v65, v6, s[8:11], 0 offen offset:256    // 0000000099D0: E0701100 80024106
	buffer_store_dword v67, v6, s[8:11], 0 offen offset:384    // 0000000099D8: E0701180 80024306
	buffer_store_dword v69, v6, s[8:11], 0 offen offset:512    // 0000000099E0: E0701200 80024506
	buffer_store_dword v71, v6, s[8:11], 0 offen offset:640    // 0000000099E8: E0701280 80024706
	buffer_store_dword v73, v6, s[8:11], 0 offen offset:768    // 0000000099F0: E0701300 80024906
	buffer_store_dword v75, v6, s[8:11], 0 offen offset:896    // 0000000099F8: E0701380 80024B06
	s_mov_b64 exec, s[36:37]                                   // 000000009A00: BEFE0124
	v_mov_b32_e32 v6, v45                                      // 000000009A04: 7E0C032D
	s_mov_b64 s[60:61], 0                                      // 000000009A08: BEBC0180
	v_readlane_b32 s82, v3, 4                                  // 000000009A0C: D2890052 00010903
	s_and_b32 s82, s82, 0xffffff                               // 000000009A14: 8652FF52 00FFFFFF
	s_cmp_lt_u32 s82, s66                                      // 000000009A1C: BF0A4252
	s_cselect_b32 s20, s36, s60                                // 000000009A20: 85143C24
	v_readlane_b32 s82, v3, 5                                  // 000000009A24: D2890052 00010B03
	s_and_b32 s82, s82, 0xffffff                               // 000000009A2C: 8652FF52 00FFFFFF
	s_cmp_lt_u32 s82, s66                                      // 000000009A34: BF0A4252
	s_cselect_b32 s21, s36, s60                                // 000000009A38: 85153C24
	s_mov_b64 exec, s[20:21]                                   // 000000009A3C: BEFE0114
	buffer_store_dword v76, v6, s[8:11], 0 offen               // 000000009A40: E0701000 80024C06
	buffer_store_dword v78, v6, s[8:11], 0 offen offset:128    // 000000009A48: E0701080 80024E06
	buffer_store_dword v80, v6, s[8:11], 0 offen offset:256    // 000000009A50: E0701100 80025006
	buffer_store_dword v82, v6, s[8:11], 0 offen offset:384    // 000000009A58: E0701180 80025206
	buffer_store_dword v84, v6, s[8:11], 0 offen offset:512    // 000000009A60: E0701200 80025406
	buffer_store_dword v86, v6, s[8:11], 0 offen offset:640    // 000000009A68: E0701280 80025606
	buffer_store_dword v88, v6, s[8:11], 0 offen offset:768    // 000000009A70: E0701300 80025806
	buffer_store_dword v90, v6, s[8:11], 0 offen offset:896    // 000000009A78: E0701380 80025A06
	s_mov_b64 exec, s[36:37]                                   // 000000009A80: BEFE0124
	v_mov_b32_e32 v6, v46                                      // 000000009A84: 7E0C032E
	s_mov_b64 s[60:61], 0                                      // 000000009A88: BEBC0180
	v_readlane_b32 s82, v3, 6                                  // 000000009A8C: D2890052 00010D03
	s_and_b32 s82, s82, 0xffffff                               // 000000009A94: 8652FF52 00FFFFFF
	s_cmp_lt_u32 s82, s66                                      // 000000009A9C: BF0A4252
	s_cselect_b32 s20, s36, s60                                // 000000009AA0: 85143C24
	v_readlane_b32 s82, v3, 7                                  // 000000009AA4: D2890052 00010F03
	s_and_b32 s82, s82, 0xffffff                               // 000000009AAC: 8652FF52 00FFFFFF
	s_cmp_lt_u32 s82, s66                                      // 000000009AB4: BF0A4252
	s_cselect_b32 s21, s36, s60                                // 000000009AB8: 85153C24
	s_mov_b64 exec, s[20:21]                                   // 000000009ABC: BEFE0114
	buffer_store_dword v77, v6, s[8:11], 0 offen               // 000000009AC0: E0701000 80024D06
	buffer_store_dword v79, v6, s[8:11], 0 offen offset:128    // 000000009AC8: E0701080 80024F06
	buffer_store_dword v81, v6, s[8:11], 0 offen offset:256    // 000000009AD0: E0701100 80025106
	buffer_store_dword v83, v6, s[8:11], 0 offen offset:384    // 000000009AD8: E0701180 80025306
	buffer_store_dword v85, v6, s[8:11], 0 offen offset:512    // 000000009AE0: E0701200 80025506
	buffer_store_dword v87, v6, s[8:11], 0 offen offset:640    // 000000009AE8: E0701280 80025706
	buffer_store_dword v89, v6, s[8:11], 0 offen offset:768    // 000000009AF0: E0701300 80025906
	buffer_store_dword v91, v6, s[8:11], 0 offen offset:896    // 000000009AF8: E0701380 80025B06
	s_mov_b64 exec, s[36:37]                                   // 000000009B00: BEFE0124
	v_mov_b32_e32 v6, v47                                      // 000000009B04: 7E0C032F
	s_mov_b64 s[60:61], 0                                      // 000000009B08: BEBC0180
	v_readlane_b32 s82, v3, 8                                  // 000000009B0C: D2890052 00011103
	s_and_b32 s82, s82, 0xffffff                               // 000000009B14: 8652FF52 00FFFFFF
	s_cmp_lt_u32 s82, s66                                      // 000000009B1C: BF0A4252
	s_cselect_b32 s20, s36, s60                                // 000000009B20: 85143C24
	v_readlane_b32 s82, v3, 9                                  // 000000009B24: D2890052 00011303
	s_and_b32 s82, s82, 0xffffff                               // 000000009B2C: 8652FF52 00FFFFFF
	s_cmp_lt_u32 s82, s66                                      // 000000009B34: BF0A4252
	s_cselect_b32 s21, s36, s60                                // 000000009B38: 85153C24
	s_mov_b64 exec, s[20:21]                                   // 000000009B3C: BEFE0114
	buffer_store_dword v92, v6, s[8:11], 0 offen               // 000000009B40: E0701000 80025C06
	buffer_store_dword v94, v6, s[8:11], 0 offen offset:128    // 000000009B48: E0701080 80025E06
	buffer_store_dword v96, v6, s[8:11], 0 offen offset:256    // 000000009B50: E0701100 80026006
	buffer_store_dword v98, v6, s[8:11], 0 offen offset:384    // 000000009B58: E0701180 80026206
	buffer_store_dword v100, v6, s[8:11], 0 offen offset:512   // 000000009B60: E0701200 80026406
	buffer_store_dword v102, v6, s[8:11], 0 offen offset:640   // 000000009B68: E0701280 80026606
	buffer_store_dword v104, v6, s[8:11], 0 offen offset:768   // 000000009B70: E0701300 80026806
	buffer_store_dword v106, v6, s[8:11], 0 offen offset:896   // 000000009B78: E0701380 80026A06
	s_mov_b64 exec, s[36:37]                                   // 000000009B80: BEFE0124
	v_mov_b32_e32 v6, v48                                      // 000000009B84: 7E0C0330
	s_mov_b64 s[60:61], 0                                      // 000000009B88: BEBC0180
	v_readlane_b32 s82, v3, 10                                 // 000000009B8C: D2890052 00011503
	s_and_b32 s82, s82, 0xffffff                               // 000000009B94: 8652FF52 00FFFFFF
	s_cmp_lt_u32 s82, s66                                      // 000000009B9C: BF0A4252
	s_cselect_b32 s20, s36, s60                                // 000000009BA0: 85143C24
	v_readlane_b32 s82, v3, 11                                 // 000000009BA4: D2890052 00011703
	s_and_b32 s82, s82, 0xffffff                               // 000000009BAC: 8652FF52 00FFFFFF
	s_cmp_lt_u32 s82, s66                                      // 000000009BB4: BF0A4252
	s_cselect_b32 s21, s36, s60                                // 000000009BB8: 85153C24
	s_mov_b64 exec, s[20:21]                                   // 000000009BBC: BEFE0114
	buffer_store_dword v93, v6, s[8:11], 0 offen               // 000000009BC0: E0701000 80025D06
	buffer_store_dword v95, v6, s[8:11], 0 offen offset:128    // 000000009BC8: E0701080 80025F06
	buffer_store_dword v97, v6, s[8:11], 0 offen offset:256    // 000000009BD0: E0701100 80026106
	buffer_store_dword v99, v6, s[8:11], 0 offen offset:384    // 000000009BD8: E0701180 80026306
	buffer_store_dword v101, v6, s[8:11], 0 offen offset:512   // 000000009BE0: E0701200 80026506
	buffer_store_dword v103, v6, s[8:11], 0 offen offset:640   // 000000009BE8: E0701280 80026706
	buffer_store_dword v105, v6, s[8:11], 0 offen offset:768   // 000000009BF0: E0701300 80026906
	buffer_store_dword v107, v6, s[8:11], 0 offen offset:896   // 000000009BF8: E0701380 80026B06
	s_mov_b64 exec, s[36:37]                                   // 000000009C00: BEFE0124
	s_branch label_41E4                                        // 000000009C04: BF82255F

0000000000009c08 <label_1C82>:
	ds_write_b64 v20, v[60:61]                                 // 000000009C08: D89A0000 00003C14
	ds_write_b64 v20, v[64:65] offset:17408                    // 000000009C10: D89A4400 00004014
	ds_write_b64 v20, v[68:69] offset:34816                    // 000000009C18: D89A8800 00004414
	ds_write_b64 v20, v[72:73] offset:2176                     // 000000009C20: D89A0880 00004814
	ds_write_b64 v20, v[76:77] offset:19584                    // 000000009C28: D89A4C80 00004C14
	ds_write_b64 v20, v[80:81] offset:36992                    // 000000009C30: D89A9080 00005014
	ds_write_b64 v20, v[84:85] offset:4352                     // 000000009C38: D89A1100 00005414
	ds_write_b64 v20, v[88:89] offset:21760                    // 000000009C40: D89A5500 00005814
	ds_write_b64 v20, v[92:93] offset:39168                    // 000000009C48: D89A9900 00005C14
	ds_write_b64 v20, v[96:97] offset:6528                     // 000000009C50: D89A1980 00006014
	ds_write_b64 v20, v[100:101] offset:23936                  // 000000009C58: D89A5D80 00006414
	ds_write_b64 v20, v[104:105] offset:41344                  // 000000009C60: D89AA180 00006814
	ds_write_b64 v20, v[108:109] offset:8704                   // 000000009C68: D89A2200 00006C14
	ds_write_b64 v20, v[112:113] offset:26112                  // 000000009C70: D89A6600 00007014
	ds_write_b64 v20, v[116:117] offset:43520                  // 000000009C78: D89AAA00 00007414
	ds_write_b64 v20, v[120:121] offset:10880                  // 000000009C80: D89A2A80 00007814
	ds_write_b64 v20, v[124:125] offset:28288                  // 000000009C88: D89A6E80 00007C14
	ds_write_b64 v20, v[128:129] offset:45696                  // 000000009C90: D89AB280 00008014
	ds_write_b64 v20, v[132:133] offset:13056                  // 000000009C98: D89A3300 00008414
	ds_write_b64 v20, v[136:137] offset:30464                  // 000000009CA0: D89A7700 00008814
	ds_write_b64 v20, v[140:141] offset:47872                  // 000000009CA8: D89ABB00 00008C14
	ds_write_b64 v20, v[144:145] offset:15232                  // 000000009CB0: D89A3B80 00009014
	ds_write_b64 v20, v[148:149] offset:32640                  // 000000009CB8: D89A7F80 00009414
	ds_write_b64 v20, v[152:153] offset:50048                  // 000000009CC0: D89AC380 00009814
	v_lshrrev_b32_e32 v4, 5, v0                                // 000000009CC8: 20080085
	v_xor_b32_e32 v5, 1, v4                                    // 000000009CCC: 2A0A0881
	s_mul_i32 s60, s65, 2                                      // 000000009CD0: 923C8241
	s_cmp_eq_u32 s88, 0                                        // 000000009CD4: BF068058
	s_cselect_b32 s61, 1, 4                                    // 000000009CD8: 853D8481
	s_mul_i32 s60, s61, s60                                    // 000000009CDC: 923C3C3D
	v_readlane_b32 s82, v3, 0                                  // 000000009CE0: D2890052 00010103
	s_lshr_b32 s61, s82, 24                                    // 000000009CE8: 8F3D9852
	s_and_b32 s82, s82, 0xffffff                               // 000000009CEC: 8652FF52 00FFFFFF
	s_mul_i32 s82, s82, s71                                    // 000000009CF4: 92524752
	s_mul_i32 s61, s60, s61                                    // 000000009CF8: 923D3D3C
	s_add_u32 s82, s82, s61                                    // 000000009CFC: 80523D52
	v_mul_lo_u32 v6, v5, s82                                   // 000000009D00: D2850006 0000A505
	v_readlane_b32 s82, v3, 1                                  // 000000009D08: D2890052 00010303
	s_lshr_b32 s61, s82, 24                                    // 000000009D10: 8F3D9852
	s_and_b32 s82, s82, 0xffffff                               // 000000009D14: 8652FF52 00FFFFFF
	s_mul_i32 s82, s82, s71                                    // 000000009D1C: 92524752
	s_mul_i32 s61, s60, s61                                    // 000000009D20: 923D3D3C
	s_add_u32 s82, s82, s61                                    // 000000009D24: 80523D52
	v_mul_lo_u32 v7, v4, s82                                   // 000000009D28: D2850007 0000A504
	v_add_u32_e32 v43, v6, v7                                  // 000000009D30: 68560F06
	v_readlane_b32 s82, v3, 2                                  // 000000009D34: D2890052 00010503
	s_lshr_b32 s61, s82, 24                                    // 000000009D3C: 8F3D9852
	s_and_b32 s82, s82, 0xffffff                               // 000000009D40: 8652FF52 00FFFFFF
	s_mul_i32 s82, s82, s71                                    // 000000009D48: 92524752
	s_mul_i32 s61, s60, s61                                    // 000000009D4C: 923D3D3C
	s_add_u32 s82, s82, s61                                    // 000000009D50: 80523D52
	v_mul_lo_u32 v6, v5, s82                                   // 000000009D54: D2850006 0000A505
	v_readlane_b32 s82, v3, 3                                  // 000000009D5C: D2890052 00010703
	s_lshr_b32 s61, s82, 24                                    // 000000009D64: 8F3D9852
	s_and_b32 s82, s82, 0xffffff                               // 000000009D68: 8652FF52 00FFFFFF
	s_mul_i32 s82, s82, s71                                    // 000000009D70: 92524752
	s_mul_i32 s61, s60, s61                                    // 000000009D74: 923D3D3C
	s_add_u32 s82, s82, s61                                    // 000000009D78: 80523D52
	v_mul_lo_u32 v7, v4, s82                                   // 000000009D7C: D2850007 0000A504
	v_add_u32_e32 v44, v6, v7                                  // 000000009D84: 68580F06
	v_readlane_b32 s82, v3, 4                                  // 000000009D88: D2890052 00010903
	s_lshr_b32 s61, s82, 24                                    // 000000009D90: 8F3D9852
	s_and_b32 s82, s82, 0xffffff                               // 000000009D94: 8652FF52 00FFFFFF
	s_mul_i32 s82, s82, s71                                    // 000000009D9C: 92524752
	s_mul_i32 s61, s60, s61                                    // 000000009DA0: 923D3D3C
	s_add_u32 s82, s82, s61                                    // 000000009DA4: 80523D52
	v_mul_lo_u32 v6, v5, s82                                   // 000000009DA8: D2850006 0000A505
	v_readlane_b32 s82, v3, 5                                  // 000000009DB0: D2890052 00010B03
	s_lshr_b32 s61, s82, 24                                    // 000000009DB8: 8F3D9852
	s_and_b32 s82, s82, 0xffffff                               // 000000009DBC: 8652FF52 00FFFFFF
	s_mul_i32 s82, s82, s71                                    // 000000009DC4: 92524752
	s_mul_i32 s61, s60, s61                                    // 000000009DC8: 923D3D3C
	s_add_u32 s82, s82, s61                                    // 000000009DCC: 80523D52
	v_mul_lo_u32 v7, v4, s82                                   // 000000009DD0: D2850007 0000A504
	v_add_u32_e32 v45, v6, v7                                  // 000000009DD8: 685A0F06
	v_readlane_b32 s82, v3, 6                                  // 000000009DDC: D2890052 00010D03
	s_lshr_b32 s61, s82, 24                                    // 000000009DE4: 8F3D9852
	s_and_b32 s82, s82, 0xffffff                               // 000000009DE8: 8652FF52 00FFFFFF
	s_mul_i32 s82, s82, s71                                    // 000000009DF0: 92524752
	s_mul_i32 s61, s60, s61                                    // 000000009DF4: 923D3D3C
	s_add_u32 s82, s82, s61                                    // 000000009DF8: 80523D52
	v_mul_lo_u32 v6, v5, s82                                   // 000000009DFC: D2850006 0000A505
	v_readlane_b32 s82, v3, 7                                  // 000000009E04: D2890052 00010F03
	s_lshr_b32 s61, s82, 24                                    // 000000009E0C: 8F3D9852
	s_and_b32 s82, s82, 0xffffff                               // 000000009E10: 8652FF52 00FFFFFF
	s_mul_i32 s82, s82, s71                                    // 000000009E18: 92524752
	s_mul_i32 s61, s60, s61                                    // 000000009E1C: 923D3D3C
	s_add_u32 s82, s82, s61                                    // 000000009E20: 80523D52
	v_mul_lo_u32 v7, v4, s82                                   // 000000009E24: D2850007 0000A504
	v_add_u32_e32 v46, v6, v7                                  // 000000009E2C: 685C0F06
	v_readlane_b32 s82, v3, 8                                  // 000000009E30: D2890052 00011103
	s_lshr_b32 s61, s82, 24                                    // 000000009E38: 8F3D9852
	s_and_b32 s82, s82, 0xffffff                               // 000000009E3C: 8652FF52 00FFFFFF
	s_mul_i32 s82, s82, s71                                    // 000000009E44: 92524752
	s_mul_i32 s61, s60, s61                                    // 000000009E48: 923D3D3C
	s_add_u32 s82, s82, s61                                    // 000000009E4C: 80523D52
	v_mul_lo_u32 v6, v5, s82                                   // 000000009E50: D2850006 0000A505
	v_readlane_b32 s82, v3, 9                                  // 000000009E58: D2890052 00011303
	s_lshr_b32 s61, s82, 24                                    // 000000009E60: 8F3D9852
	s_and_b32 s82, s82, 0xffffff                               // 000000009E64: 8652FF52 00FFFFFF
	s_mul_i32 s82, s82, s71                                    // 000000009E6C: 92524752
	s_mul_i32 s61, s60, s61                                    // 000000009E70: 923D3D3C
	s_add_u32 s82, s82, s61                                    // 000000009E74: 80523D52
	v_mul_lo_u32 v7, v4, s82                                   // 000000009E78: D2850007 0000A504
	v_add_u32_e32 v47, v6, v7                                  // 000000009E80: 685E0F06
	v_readlane_b32 s82, v3, 10                                 // 000000009E84: D2890052 00011503
	s_lshr_b32 s61, s82, 24                                    // 000000009E8C: 8F3D9852
	s_and_b32 s82, s82, 0xffffff                               // 000000009E90: 8652FF52 00FFFFFF
	s_mul_i32 s82, s82, s71                                    // 000000009E98: 92524752
	s_mul_i32 s61, s60, s61                                    // 000000009E9C: 923D3D3C
	s_add_u32 s82, s82, s61                                    // 000000009EA0: 80523D52
	v_mul_lo_u32 v6, v5, s82                                   // 000000009EA4: D2850006 0000A505
	v_readlane_b32 s82, v3, 11                                 // 000000009EAC: D2890052 00011703
	s_lshr_b32 s61, s82, 24                                    // 000000009EB4: 8F3D9852
	s_and_b32 s82, s82, 0xffffff                               // 000000009EB8: 8652FF52 00FFFFFF
	s_mul_i32 s82, s82, s71                                    // 000000009EC0: 92524752
	s_mul_i32 s61, s60, s61                                    // 000000009EC4: 923D3D3C
	s_add_u32 s82, s82, s61                                    // 000000009EC8: 80523D52
	v_mul_lo_u32 v7, v4, s82                                   // 000000009ECC: D2850007 0000A504
	v_add_u32_e32 v48, v6, v7                                  // 000000009ED4: 68600F06
	v_and_b32_e32 v4, 31, v0                                   // 000000009ED8: 2608009F
	v_lshrrev_b32_e32 v4, 1, v4                                // 000000009EDC: 20080881
	s_cmp_eq_u32 s88, 0                                        // 000000009EE0: BF068058
	s_cselect_b32 s61, 2, 4                                    // 000000009EE4: 853D8482
	v_mul_lo_u32 v4, v4, s61                                   // 000000009EE8: D2850004 00007B04
	v_and_b32_e64 v5, v0, 1                                    // 000000009EF0: D1130005 00010300
	v_add_u32_e32 v4, v4, v5                                   // 000000009EF8: 68080B04
	v_lshlrev_b32_e32 v4, 2, v4                                // 000000009EFC: 24080882
	v_add_u32_e32 v43, v43, v4                                 // 000000009F00: 6856092B
	v_add_u32_e32 v44, v44, v4                                 // 000000009F04: 6858092C
	v_add_u32_e32 v45, v45, v4                                 // 000000009F08: 685A092D
	v_add_u32_e32 v46, v46, v4                                 // 000000009F0C: 685C092E
	v_add_u32_e32 v47, v47, v4                                 // 000000009F10: 685E092F
	v_add_u32_e32 v48, v48, v4                                 // 000000009F14: 68600930
	s_waitcnt lgkmcnt(0)                                       // 000000009F18: BF8CC07F
	s_barrier                                                  // 000000009F1C: BF8A0000
	ds_read_b32 v60, v21                                       // 000000009F20: D86C0000 3C000015
	ds_read_b32 v61, v21 offset:64                             // 000000009F28: D86C0040 3D000015
	ds_read_b32 v64, v21 offset:2176                           // 000000009F30: D86C0880 40000015
	ds_read_b32 v65, v21 offset:2240                           // 000000009F38: D86C08C0 41000015
	ds_read_b32 v68, v21 offset:4352                           // 000000009F40: D86C1100 44000015
	ds_read_b32 v69, v21 offset:4416                           // 000000009F48: D86C1140 45000015
	ds_read_b32 v72, v21 offset:6528                           // 000000009F50: D86C1980 48000015
	ds_read_b32 v73, v21 offset:6592                           // 000000009F58: D86C19C0 49000015
	ds_read_b32 v76, v21 offset:8704                           // 000000009F60: D86C2200 4C000015
	ds_read_b32 v77, v21 offset:8768                           // 000000009F68: D86C2240 4D000015
	ds_read_b32 v80, v21 offset:10880                          // 000000009F70: D86C2A80 50000015
	ds_read_b32 v81, v21 offset:10944                          // 000000009F78: D86C2AC0 51000015
	ds_read_b32 v84, v21 offset:13056                          // 000000009F80: D86C3300 54000015
	ds_read_b32 v85, v21 offset:13120                          // 000000009F88: D86C3340 55000015
	ds_read_b32 v88, v21 offset:15232                          // 000000009F90: D86C3B80 58000015
	ds_read_b32 v89, v21 offset:15296                          // 000000009F98: D86C3BC0 59000015
	ds_read_b32 v92, v21 offset:17408                          // 000000009FA0: D86C4400 5C000015
	ds_read_b32 v93, v21 offset:17472                          // 000000009FA8: D86C4440 5D000015
	ds_read_b32 v96, v21 offset:19584                          // 000000009FB0: D86C4C80 60000015
	ds_read_b32 v97, v21 offset:19648                          // 000000009FB8: D86C4CC0 61000015
	ds_read_b32 v100, v21 offset:21760                         // 000000009FC0: D86C5500 64000015
	ds_read_b32 v101, v21 offset:21824                         // 000000009FC8: D86C5540 65000015
	ds_read_b32 v104, v21 offset:23936                         // 000000009FD0: D86C5D80 68000015
	ds_read_b32 v105, v21 offset:24000                         // 000000009FD8: D86C5DC0 69000015
	ds_read_b32 v108, v21 offset:26112                         // 000000009FE0: D86C6600 6C000015
	ds_read_b32 v109, v21 offset:26176                         // 000000009FE8: D86C6640 6D000015
	ds_read_b32 v112, v21 offset:28288                         // 000000009FF0: D86C6E80 70000015
	ds_read_b32 v113, v21 offset:28352                         // 000000009FF8: D86C6EC0 71000015
	ds_read_b32 v116, v21 offset:30464                         // 00000000A000: D86C7700 74000015
	ds_read_b32 v117, v21 offset:30528                         // 00000000A008: D86C7740 75000015
	ds_read_b32 v120, v21 offset:32640                         // 00000000A010: D86C7F80 78000015
	ds_read_b32 v121, v21 offset:32704                         // 00000000A018: D86C7FC0 79000015
	ds_read_b32 v124, v21 offset:34816                         // 00000000A020: D86C8800 7C000015
	ds_read_b32 v125, v21 offset:34880                         // 00000000A028: D86C8840 7D000015
	ds_read_b32 v128, v21 offset:36992                         // 00000000A030: D86C9080 80000015
	ds_read_b32 v129, v21 offset:37056                         // 00000000A038: D86C90C0 81000015
	ds_read_b32 v132, v21 offset:39168                         // 00000000A040: D86C9900 84000015
	ds_read_b32 v133, v21 offset:39232                         // 00000000A048: D86C9940 85000015
	ds_read_b32 v136, v21 offset:41344                         // 00000000A050: D86CA180 88000015
	ds_read_b32 v137, v21 offset:41408                         // 00000000A058: D86CA1C0 89000015
	ds_read_b32 v140, v21 offset:43520                         // 00000000A060: D86CAA00 8C000015
	ds_read_b32 v141, v21 offset:43584                         // 00000000A068: D86CAA40 8D000015
	ds_read_b32 v144, v21 offset:45696                         // 00000000A070: D86CB280 90000015
	ds_read_b32 v145, v21 offset:45760                         // 00000000A078: D86CB2C0 91000015
	ds_read_b32 v148, v21 offset:47872                         // 00000000A080: D86CBB00 94000015
	ds_read_b32 v149, v21 offset:47936                         // 00000000A088: D86CBB40 95000015
	ds_read_b32 v152, v21 offset:50048                         // 00000000A090: D86CC380 98000015
	ds_read_b32 v153, v21 offset:50112                         // 00000000A098: D86CC3C0 99000015
	s_waitcnt lgkmcnt(0)                                       // 00000000A0A0: BF8CC07F
	s_mov_b32 s36, -1                                          // 00000000A0A4: BEA400C1
	s_mov_b32 s37, -1                                          // 00000000A0A8: BEA500C1
	v_mov_b32_e32 v7, 0                                        // 00000000A0AC: 7E0E0280
	s_mov_b64 exec, s[36:37]                                   // 00000000A0B0: BEFE0124
	v_mov_b32_e32 v6, v43                                      // 00000000A0B4: 7E0C032B
	s_mov_b64 s[60:61], 0                                      // 00000000A0B8: BEBC0180
	v_readlane_b32 s82, v3, 0                                  // 00000000A0BC: D2890052 00010103
	s_and_b32 s82, s82, 0xffffff                               // 00000000A0C4: 8652FF52 00FFFFFF
	s_cmp_lt_u32 s82, s66                                      // 00000000A0CC: BF0A4252
	s_cselect_b32 s20, s36, s60                                // 00000000A0D0: 85143C24
	v_readlane_b32 s82, v3, 1                                  // 00000000A0D4: D2890052 00010303
	s_and_b32 s82, s82, 0xffffff                               // 00000000A0DC: 8652FF52 00FFFFFF
	s_cmp_lt_u32 s82, s66                                      // 00000000A0E4: BF0A4252
	s_cselect_b32 s21, s36, s60                                // 00000000A0E8: 85153C24
	s_mov_b64 exec, s[20:21]                                   // 00000000A0EC: BEFE0114
	global_atomic_add_f32 v6, v60, s[8:9]                      // 00000000A0F0: DD348000 00083C06
	global_atomic_add_f32 v6, v64, s[8:9] offset:256           // 00000000A0F8: DD348100 00084006
	global_atomic_add_f32 v6, v68, s[8:9] offset:512           // 00000000A100: DD348200 00084406
	global_atomic_add_f32 v6, v72, s[8:9] offset:768           // 00000000A108: DD348300 00084806
	global_atomic_add_f32 v6, v76, s[8:9] offset:1024          // 00000000A110: DD348400 00084C06
	global_atomic_add_f32 v6, v80, s[8:9] offset:1280          // 00000000A118: DD348500 00085006
	global_atomic_add_f32 v6, v84, s[8:9] offset:1536          // 00000000A120: DD348600 00085406
	global_atomic_add_f32 v6, v88, s[8:9] offset:1792          // 00000000A128: DD348700 00085806
	s_mov_b64 exec, s[36:37]                                   // 00000000A130: BEFE0124
	v_mov_b32_e32 v6, v44                                      // 00000000A134: 7E0C032C
	s_mov_b64 s[60:61], 0                                      // 00000000A138: BEBC0180
	v_readlane_b32 s82, v3, 2                                  // 00000000A13C: D2890052 00010503
	s_and_b32 s82, s82, 0xffffff                               // 00000000A144: 8652FF52 00FFFFFF
	s_cmp_lt_u32 s82, s66                                      // 00000000A14C: BF0A4252
	s_cselect_b32 s20, s36, s60                                // 00000000A150: 85143C24
	v_readlane_b32 s82, v3, 3                                  // 00000000A154: D2890052 00010703
	s_and_b32 s82, s82, 0xffffff                               // 00000000A15C: 8652FF52 00FFFFFF
	s_cmp_lt_u32 s82, s66                                      // 00000000A164: BF0A4252
	s_cselect_b32 s21, s36, s60                                // 00000000A168: 85153C24
	s_mov_b64 exec, s[20:21]                                   // 00000000A16C: BEFE0114
	global_atomic_add_f32 v6, v61, s[8:9]                      // 00000000A170: DD348000 00083D06
	global_atomic_add_f32 v6, v65, s[8:9] offset:256           // 00000000A178: DD348100 00084106
	global_atomic_add_f32 v6, v69, s[8:9] offset:512           // 00000000A180: DD348200 00084506
	global_atomic_add_f32 v6, v73, s[8:9] offset:768           // 00000000A188: DD348300 00084906
	global_atomic_add_f32 v6, v77, s[8:9] offset:1024          // 00000000A190: DD348400 00084D06
	global_atomic_add_f32 v6, v81, s[8:9] offset:1280          // 00000000A198: DD348500 00085106
	global_atomic_add_f32 v6, v85, s[8:9] offset:1536          // 00000000A1A0: DD348600 00085506
	global_atomic_add_f32 v6, v89, s[8:9] offset:1792          // 00000000A1A8: DD348700 00085906
	s_mov_b64 exec, s[36:37]                                   // 00000000A1B0: BEFE0124
	v_mov_b32_e32 v6, v45                                      // 00000000A1B4: 7E0C032D
	s_mov_b64 s[60:61], 0                                      // 00000000A1B8: BEBC0180
	v_readlane_b32 s82, v3, 4                                  // 00000000A1BC: D2890052 00010903
	s_and_b32 s82, s82, 0xffffff                               // 00000000A1C4: 8652FF52 00FFFFFF
	s_cmp_lt_u32 s82, s66                                      // 00000000A1CC: BF0A4252
	s_cselect_b32 s20, s36, s60                                // 00000000A1D0: 85143C24
	v_readlane_b32 s82, v3, 5                                  // 00000000A1D4: D2890052 00010B03
	s_and_b32 s82, s82, 0xffffff                               // 00000000A1DC: 8652FF52 00FFFFFF
	s_cmp_lt_u32 s82, s66                                      // 00000000A1E4: BF0A4252
	s_cselect_b32 s21, s36, s60                                // 00000000A1E8: 85153C24
	s_mov_b64 exec, s[20:21]                                   // 00000000A1EC: BEFE0114
	global_atomic_add_f32 v6, v92, s[8:9]                      // 00000000A1F0: DD348000 00085C06
	global_atomic_add_f32 v6, v96, s[8:9] offset:256           // 00000000A1F8: DD348100 00086006
	global_atomic_add_f32 v6, v100, s[8:9] offset:512          // 00000000A200: DD348200 00086406
	global_atomic_add_f32 v6, v104, s[8:9] offset:768          // 00000000A208: DD348300 00086806
	global_atomic_add_f32 v6, v108, s[8:9] offset:1024         // 00000000A210: DD348400 00086C06
	global_atomic_add_f32 v6, v112, s[8:9] offset:1280         // 00000000A218: DD348500 00087006
	global_atomic_add_f32 v6, v116, s[8:9] offset:1536         // 00000000A220: DD348600 00087406
	global_atomic_add_f32 v6, v120, s[8:9] offset:1792         // 00000000A228: DD348700 00087806
	s_mov_b64 exec, s[36:37]                                   // 00000000A230: BEFE0124
	v_mov_b32_e32 v6, v46                                      // 00000000A234: 7E0C032E
	s_mov_b64 s[60:61], 0                                      // 00000000A238: BEBC0180
	v_readlane_b32 s82, v3, 6                                  // 00000000A23C: D2890052 00010D03
	s_and_b32 s82, s82, 0xffffff                               // 00000000A244: 8652FF52 00FFFFFF
	s_cmp_lt_u32 s82, s66                                      // 00000000A24C: BF0A4252
	s_cselect_b32 s20, s36, s60                                // 00000000A250: 85143C24
	v_readlane_b32 s82, v3, 7                                  // 00000000A254: D2890052 00010F03
	s_and_b32 s82, s82, 0xffffff                               // 00000000A25C: 8652FF52 00FFFFFF
	s_cmp_lt_u32 s82, s66                                      // 00000000A264: BF0A4252
	s_cselect_b32 s21, s36, s60                                // 00000000A268: 85153C24
	s_mov_b64 exec, s[20:21]                                   // 00000000A26C: BEFE0114
	global_atomic_add_f32 v6, v93, s[8:9]                      // 00000000A270: DD348000 00085D06
	global_atomic_add_f32 v6, v97, s[8:9] offset:256           // 00000000A278: DD348100 00086106
	global_atomic_add_f32 v6, v101, s[8:9] offset:512          // 00000000A280: DD348200 00086506
	global_atomic_add_f32 v6, v105, s[8:9] offset:768          // 00000000A288: DD348300 00086906
	global_atomic_add_f32 v6, v109, s[8:9] offset:1024         // 00000000A290: DD348400 00086D06
	global_atomic_add_f32 v6, v113, s[8:9] offset:1280         // 00000000A298: DD348500 00087106
	global_atomic_add_f32 v6, v117, s[8:9] offset:1536         // 00000000A2A0: DD348600 00087506
	global_atomic_add_f32 v6, v121, s[8:9] offset:1792         // 00000000A2A8: DD348700 00087906
	s_mov_b64 exec, s[36:37]                                   // 00000000A2B0: BEFE0124
	v_mov_b32_e32 v6, v47                                      // 00000000A2B4: 7E0C032F
	s_mov_b64 s[60:61], 0                                      // 00000000A2B8: BEBC0180
	v_readlane_b32 s82, v3, 8                                  // 00000000A2BC: D2890052 00011103
	s_and_b32 s82, s82, 0xffffff                               // 00000000A2C4: 8652FF52 00FFFFFF
	s_cmp_lt_u32 s82, s66                                      // 00000000A2CC: BF0A4252
	s_cselect_b32 s20, s36, s60                                // 00000000A2D0: 85143C24
	v_readlane_b32 s82, v3, 9                                  // 00000000A2D4: D2890052 00011303
	s_and_b32 s82, s82, 0xffffff                               // 00000000A2DC: 8652FF52 00FFFFFF
	s_cmp_lt_u32 s82, s66                                      // 00000000A2E4: BF0A4252
	s_cselect_b32 s21, s36, s60                                // 00000000A2E8: 85153C24
	s_mov_b64 exec, s[20:21]                                   // 00000000A2EC: BEFE0114
	global_atomic_add_f32 v6, v124, s[8:9]                     // 00000000A2F0: DD348000 00087C06
	global_atomic_add_f32 v6, v128, s[8:9] offset:256          // 00000000A2F8: DD348100 00088006
	global_atomic_add_f32 v6, v132, s[8:9] offset:512          // 00000000A300: DD348200 00088406
	global_atomic_add_f32 v6, v136, s[8:9] offset:768          // 00000000A308: DD348300 00088806
	global_atomic_add_f32 v6, v140, s[8:9] offset:1024         // 00000000A310: DD348400 00088C06
	global_atomic_add_f32 v6, v144, s[8:9] offset:1280         // 00000000A318: DD348500 00089006
	global_atomic_add_f32 v6, v148, s[8:9] offset:1536         // 00000000A320: DD348600 00089406
	global_atomic_add_f32 v6, v152, s[8:9] offset:1792         // 00000000A328: DD348700 00089806
	s_mov_b64 exec, s[36:37]                                   // 00000000A330: BEFE0124
	v_mov_b32_e32 v6, v48                                      // 00000000A334: 7E0C0330
	s_mov_b64 s[60:61], 0                                      // 00000000A338: BEBC0180
	v_readlane_b32 s82, v3, 10                                 // 00000000A33C: D2890052 00011503
	s_and_b32 s82, s82, 0xffffff                               // 00000000A344: 8652FF52 00FFFFFF
	s_cmp_lt_u32 s82, s66                                      // 00000000A34C: BF0A4252
	s_cselect_b32 s20, s36, s60                                // 00000000A350: 85143C24
	v_readlane_b32 s82, v3, 11                                 // 00000000A354: D2890052 00011703
	s_and_b32 s82, s82, 0xffffff                               // 00000000A35C: 8652FF52 00FFFFFF
	s_cmp_lt_u32 s82, s66                                      // 00000000A364: BF0A4252
	s_cselect_b32 s21, s36, s60                                // 00000000A368: 85153C24
	s_mov_b64 exec, s[20:21]                                   // 00000000A36C: BEFE0114
	global_atomic_add_f32 v6, v125, s[8:9]                     // 00000000A370: DD348000 00087D06
	global_atomic_add_f32 v6, v129, s[8:9] offset:256          // 00000000A378: DD348100 00088106
	global_atomic_add_f32 v6, v133, s[8:9] offset:512          // 00000000A380: DD348200 00088506
	global_atomic_add_f32 v6, v137, s[8:9] offset:768          // 00000000A388: DD348300 00088906
	global_atomic_add_f32 v6, v141, s[8:9] offset:1024         // 00000000A390: DD348400 00088D06
	global_atomic_add_f32 v6, v145, s[8:9] offset:1280         // 00000000A398: DD348500 00089106
	global_atomic_add_f32 v6, v149, s[8:9] offset:1536         // 00000000A3A0: DD348600 00089506
	global_atomic_add_f32 v6, v153, s[8:9] offset:1792         // 00000000A3A8: DD348700 00089906
	s_mov_b64 exec, s[36:37]                                   // 00000000A3B0: BEFE0124
	ds_write_b64 v20, v[62:63]                                 // 00000000A3B4: D89A0000 00003E14
	ds_write_b64 v20, v[66:67] offset:17408                    // 00000000A3BC: D89A4400 00004214
	ds_write_b64 v20, v[70:71] offset:34816                    // 00000000A3C4: D89A8800 00004614
	ds_write_b64 v20, v[74:75] offset:2176                     // 00000000A3CC: D89A0880 00004A14
	ds_write_b64 v20, v[78:79] offset:19584                    // 00000000A3D4: D89A4C80 00004E14
	ds_write_b64 v20, v[82:83] offset:36992                    // 00000000A3DC: D89A9080 00005214
	ds_write_b64 v20, v[86:87] offset:4352                     // 00000000A3E4: D89A1100 00005614
	ds_write_b64 v20, v[90:91] offset:21760                    // 00000000A3EC: D89A5500 00005A14
	ds_write_b64 v20, v[94:95] offset:39168                    // 00000000A3F4: D89A9900 00005E14
	ds_write_b64 v20, v[98:99] offset:6528                     // 00000000A3FC: D89A1980 00006214
	ds_write_b64 v20, v[102:103] offset:23936                  // 00000000A404: D89A5D80 00006614
	ds_write_b64 v20, v[106:107] offset:41344                  // 00000000A40C: D89AA180 00006A14
	ds_write_b64 v20, v[110:111] offset:8704                   // 00000000A414: D89A2200 00006E14
	ds_write_b64 v20, v[114:115] offset:26112                  // 00000000A41C: D89A6600 00007214
	ds_write_b64 v20, v[118:119] offset:43520                  // 00000000A424: D89AAA00 00007614
	ds_write_b64 v20, v[122:123] offset:10880                  // 00000000A42C: D89A2A80 00007A14
	ds_write_b64 v20, v[126:127] offset:28288                  // 00000000A434: D89A6E80 00007E14
	ds_write_b64 v20, v[130:131] offset:45696                  // 00000000A43C: D89AB280 00008214
	ds_write_b64 v20, v[134:135] offset:13056                  // 00000000A444: D89A3300 00008614
	ds_write_b64 v20, v[138:139] offset:30464                  // 00000000A44C: D89A7700 00008A14
	ds_write_b64 v20, v[142:143] offset:47872                  // 00000000A454: D89ABB00 00008E14
	ds_write_b64 v20, v[146:147] offset:15232                  // 00000000A45C: D89A3B80 00009214
	ds_write_b64 v20, v[150:151] offset:32640                  // 00000000A464: D89A7F80 00009614
	ds_write_b64 v20, v[154:155] offset:50048                  // 00000000A46C: D89AC380 00009A14
	s_waitcnt lgkmcnt(0)                                       // 00000000A474: BF8CC07F
	s_barrier                                                  // 00000000A478: BF8A0000
	ds_read_b32 v62, v21                                       // 00000000A47C: D86C0000 3E000015
	ds_read_b32 v63, v21 offset:64                             // 00000000A484: D86C0040 3F000015
	ds_read_b32 v66, v21 offset:2176                           // 00000000A48C: D86C0880 42000015
	ds_read_b32 v67, v21 offset:2240                           // 00000000A494: D86C08C0 43000015
	ds_read_b32 v70, v21 offset:4352                           // 00000000A49C: D86C1100 46000015
	ds_read_b32 v71, v21 offset:4416                           // 00000000A4A4: D86C1140 47000015
	ds_read_b32 v74, v21 offset:6528                           // 00000000A4AC: D86C1980 4A000015
	ds_read_b32 v75, v21 offset:6592                           // 00000000A4B4: D86C19C0 4B000015
	ds_read_b32 v78, v21 offset:8704                           // 00000000A4BC: D86C2200 4E000015
	ds_read_b32 v79, v21 offset:8768                           // 00000000A4C4: D86C2240 4F000015
	ds_read_b32 v82, v21 offset:10880                          // 00000000A4CC: D86C2A80 52000015
	ds_read_b32 v83, v21 offset:10944                          // 00000000A4D4: D86C2AC0 53000015
	ds_read_b32 v86, v21 offset:13056                          // 00000000A4DC: D86C3300 56000015
	ds_read_b32 v87, v21 offset:13120                          // 00000000A4E4: D86C3340 57000015
	ds_read_b32 v90, v21 offset:15232                          // 00000000A4EC: D86C3B80 5A000015
	ds_read_b32 v91, v21 offset:15296                          // 00000000A4F4: D86C3BC0 5B000015
	ds_read_b32 v94, v21 offset:17408                          // 00000000A4FC: D86C4400 5E000015
	ds_read_b32 v95, v21 offset:17472                          // 00000000A504: D86C4440 5F000015
	ds_read_b32 v98, v21 offset:19584                          // 00000000A50C: D86C4C80 62000015
	ds_read_b32 v99, v21 offset:19648                          // 00000000A514: D86C4CC0 63000015
	ds_read_b32 v102, v21 offset:21760                         // 00000000A51C: D86C5500 66000015
	ds_read_b32 v103, v21 offset:21824                         // 00000000A524: D86C5540 67000015
	ds_read_b32 v106, v21 offset:23936                         // 00000000A52C: D86C5D80 6A000015
	ds_read_b32 v107, v21 offset:24000                         // 00000000A534: D86C5DC0 6B000015
	ds_read_b32 v110, v21 offset:26112                         // 00000000A53C: D86C6600 6E000015
	ds_read_b32 v111, v21 offset:26176                         // 00000000A544: D86C6640 6F000015
	ds_read_b32 v114, v21 offset:28288                         // 00000000A54C: D86C6E80 72000015
	ds_read_b32 v115, v21 offset:28352                         // 00000000A554: D86C6EC0 73000015
	ds_read_b32 v118, v21 offset:30464                         // 00000000A55C: D86C7700 76000015
	ds_read_b32 v119, v21 offset:30528                         // 00000000A564: D86C7740 77000015
	ds_read_b32 v122, v21 offset:32640                         // 00000000A56C: D86C7F80 7A000015
	ds_read_b32 v123, v21 offset:32704                         // 00000000A574: D86C7FC0 7B000015
	ds_read_b32 v126, v21 offset:34816                         // 00000000A57C: D86C8800 7E000015
	ds_read_b32 v127, v21 offset:34880                         // 00000000A584: D86C8840 7F000015
	ds_read_b32 v130, v21 offset:36992                         // 00000000A58C: D86C9080 82000015
	ds_read_b32 v131, v21 offset:37056                         // 00000000A594: D86C90C0 83000015
	ds_read_b32 v134, v21 offset:39168                         // 00000000A59C: D86C9900 86000015
	ds_read_b32 v135, v21 offset:39232                         // 00000000A5A4: D86C9940 87000015
	ds_read_b32 v138, v21 offset:41344                         // 00000000A5AC: D86CA180 8A000015
	ds_read_b32 v139, v21 offset:41408                         // 00000000A5B4: D86CA1C0 8B000015
	ds_read_b32 v142, v21 offset:43520                         // 00000000A5BC: D86CAA00 8E000015
	ds_read_b32 v143, v21 offset:43584                         // 00000000A5C4: D86CAA40 8F000015
	ds_read_b32 v146, v21 offset:45696                         // 00000000A5CC: D86CB280 92000015
	ds_read_b32 v147, v21 offset:45760                         // 00000000A5D4: D86CB2C0 93000015
	ds_read_b32 v150, v21 offset:47872                         // 00000000A5DC: D86CBB00 96000015
	ds_read_b32 v151, v21 offset:47936                         // 00000000A5E4: D86CBB40 97000015
	ds_read_b32 v154, v21 offset:50048                         // 00000000A5EC: D86CC380 9A000015
	ds_read_b32 v155, v21 offset:50112                         // 00000000A5F4: D86CC3C0 9B000015
	s_waitcnt lgkmcnt(0)                                       // 00000000A5FC: BF8CC07F
	v_mov_b32_e32 v7, 0                                        // 00000000A600: 7E0E0280
	s_mov_b64 exec, s[36:37]                                   // 00000000A604: BEFE0124
	v_mov_b32_e32 v6, v43                                      // 00000000A608: 7E0C032B
	s_mov_b64 s[60:61], 0                                      // 00000000A60C: BEBC0180
	v_readlane_b32 s82, v3, 0                                  // 00000000A610: D2890052 00010103
	s_and_b32 s82, s82, 0xffffff                               // 00000000A618: 8652FF52 00FFFFFF
	s_cmp_lt_u32 s82, s66                                      // 00000000A620: BF0A4252
	s_cselect_b32 s20, s36, s60                                // 00000000A624: 85143C24
	v_readlane_b32 s82, v3, 1                                  // 00000000A628: D2890052 00010303
	s_and_b32 s82, s82, 0xffffff                               // 00000000A630: 8652FF52 00FFFFFF
	s_cmp_lt_u32 s82, s66                                      // 00000000A638: BF0A4252
	s_cselect_b32 s21, s36, s60                                // 00000000A63C: 85153C24
	s_mov_b64 exec, s[20:21]                                   // 00000000A640: BEFE0114
	global_atomic_add_f32 v6, v62, s[8:9] offset:8             // 00000000A644: DD348008 00083E06
	global_atomic_add_f32 v6, v66, s[8:9] offset:264           // 00000000A64C: DD348108 00084206
	global_atomic_add_f32 v6, v70, s[8:9] offset:520           // 00000000A654: DD348208 00084606
	global_atomic_add_f32 v6, v74, s[8:9] offset:776           // 00000000A65C: DD348308 00084A06
	global_atomic_add_f32 v6, v78, s[8:9] offset:1032          // 00000000A664: DD348408 00084E06
	global_atomic_add_f32 v6, v82, s[8:9] offset:1288          // 00000000A66C: DD348508 00085206
	global_atomic_add_f32 v6, v86, s[8:9] offset:1544          // 00000000A674: DD348608 00085606
	global_atomic_add_f32 v6, v90, s[8:9] offset:1800          // 00000000A67C: DD348708 00085A06
	s_mov_b64 exec, s[36:37]                                   // 00000000A684: BEFE0124
	v_mov_b32_e32 v6, v44                                      // 00000000A688: 7E0C032C
	s_mov_b64 s[60:61], 0                                      // 00000000A68C: BEBC0180
	v_readlane_b32 s82, v3, 2                                  // 00000000A690: D2890052 00010503
	s_and_b32 s82, s82, 0xffffff                               // 00000000A698: 8652FF52 00FFFFFF
	s_cmp_lt_u32 s82, s66                                      // 00000000A6A0: BF0A4252
	s_cselect_b32 s20, s36, s60                                // 00000000A6A4: 85143C24
	v_readlane_b32 s82, v3, 3                                  // 00000000A6A8: D2890052 00010703
	s_and_b32 s82, s82, 0xffffff                               // 00000000A6B0: 8652FF52 00FFFFFF
	s_cmp_lt_u32 s82, s66                                      // 00000000A6B8: BF0A4252
	s_cselect_b32 s21, s36, s60                                // 00000000A6BC: 85153C24
	s_mov_b64 exec, s[20:21]                                   // 00000000A6C0: BEFE0114
	global_atomic_add_f32 v6, v63, s[8:9] offset:8             // 00000000A6C4: DD348008 00083F06
	global_atomic_add_f32 v6, v67, s[8:9] offset:264           // 00000000A6CC: DD348108 00084306
	global_atomic_add_f32 v6, v71, s[8:9] offset:520           // 00000000A6D4: DD348208 00084706
	global_atomic_add_f32 v6, v75, s[8:9] offset:776           // 00000000A6DC: DD348308 00084B06
	global_atomic_add_f32 v6, v79, s[8:9] offset:1032          // 00000000A6E4: DD348408 00084F06
	global_atomic_add_f32 v6, v83, s[8:9] offset:1288          // 00000000A6EC: DD348508 00085306
	global_atomic_add_f32 v6, v87, s[8:9] offset:1544          // 00000000A6F4: DD348608 00085706
	global_atomic_add_f32 v6, v91, s[8:9] offset:1800          // 00000000A6FC: DD348708 00085B06
	s_mov_b64 exec, s[36:37]                                   // 00000000A704: BEFE0124
	v_mov_b32_e32 v6, v45                                      // 00000000A708: 7E0C032D
	s_mov_b64 s[60:61], 0                                      // 00000000A70C: BEBC0180
	v_readlane_b32 s82, v3, 4                                  // 00000000A710: D2890052 00010903
	s_and_b32 s82, s82, 0xffffff                               // 00000000A718: 8652FF52 00FFFFFF
	s_cmp_lt_u32 s82, s66                                      // 00000000A720: BF0A4252
	s_cselect_b32 s20, s36, s60                                // 00000000A724: 85143C24
	v_readlane_b32 s82, v3, 5                                  // 00000000A728: D2890052 00010B03
	s_and_b32 s82, s82, 0xffffff                               // 00000000A730: 8652FF52 00FFFFFF
	s_cmp_lt_u32 s82, s66                                      // 00000000A738: BF0A4252
	s_cselect_b32 s21, s36, s60                                // 00000000A73C: 85153C24
	s_mov_b64 exec, s[20:21]                                   // 00000000A740: BEFE0114
	global_atomic_add_f32 v6, v94, s[8:9] offset:8             // 00000000A744: DD348008 00085E06
	global_atomic_add_f32 v6, v98, s[8:9] offset:264           // 00000000A74C: DD348108 00086206
	global_atomic_add_f32 v6, v102, s[8:9] offset:520          // 00000000A754: DD348208 00086606
	global_atomic_add_f32 v6, v106, s[8:9] offset:776          // 00000000A75C: DD348308 00086A06
	global_atomic_add_f32 v6, v110, s[8:9] offset:1032         // 00000000A764: DD348408 00086E06
	global_atomic_add_f32 v6, v114, s[8:9] offset:1288         // 00000000A76C: DD348508 00087206
	global_atomic_add_f32 v6, v118, s[8:9] offset:1544         // 00000000A774: DD348608 00087606
	global_atomic_add_f32 v6, v122, s[8:9] offset:1800         // 00000000A77C: DD348708 00087A06
	s_mov_b64 exec, s[36:37]                                   // 00000000A784: BEFE0124
	v_mov_b32_e32 v6, v46                                      // 00000000A788: 7E0C032E
	s_mov_b64 s[60:61], 0                                      // 00000000A78C: BEBC0180
	v_readlane_b32 s82, v3, 6                                  // 00000000A790: D2890052 00010D03
	s_and_b32 s82, s82, 0xffffff                               // 00000000A798: 8652FF52 00FFFFFF
	s_cmp_lt_u32 s82, s66                                      // 00000000A7A0: BF0A4252
	s_cselect_b32 s20, s36, s60                                // 00000000A7A4: 85143C24
	v_readlane_b32 s82, v3, 7                                  // 00000000A7A8: D2890052 00010F03
	s_and_b32 s82, s82, 0xffffff                               // 00000000A7B0: 8652FF52 00FFFFFF
	s_cmp_lt_u32 s82, s66                                      // 00000000A7B8: BF0A4252
	s_cselect_b32 s21, s36, s60                                // 00000000A7BC: 85153C24
	s_mov_b64 exec, s[20:21]                                   // 00000000A7C0: BEFE0114
	global_atomic_add_f32 v6, v95, s[8:9] offset:8             // 00000000A7C4: DD348008 00085F06
	global_atomic_add_f32 v6, v99, s[8:9] offset:264           // 00000000A7CC: DD348108 00086306
	global_atomic_add_f32 v6, v103, s[8:9] offset:520          // 00000000A7D4: DD348208 00086706
	global_atomic_add_f32 v6, v107, s[8:9] offset:776          // 00000000A7DC: DD348308 00086B06
	global_atomic_add_f32 v6, v111, s[8:9] offset:1032         // 00000000A7E4: DD348408 00086F06
	global_atomic_add_f32 v6, v115, s[8:9] offset:1288         // 00000000A7EC: DD348508 00087306
	global_atomic_add_f32 v6, v119, s[8:9] offset:1544         // 00000000A7F4: DD348608 00087706
	global_atomic_add_f32 v6, v123, s[8:9] offset:1800         // 00000000A7FC: DD348708 00087B06
	s_mov_b64 exec, s[36:37]                                   // 00000000A804: BEFE0124
	v_mov_b32_e32 v6, v47                                      // 00000000A808: 7E0C032F
	s_mov_b64 s[60:61], 0                                      // 00000000A80C: BEBC0180
	v_readlane_b32 s82, v3, 8                                  // 00000000A810: D2890052 00011103
	s_and_b32 s82, s82, 0xffffff                               // 00000000A818: 8652FF52 00FFFFFF
	s_cmp_lt_u32 s82, s66                                      // 00000000A820: BF0A4252
	s_cselect_b32 s20, s36, s60                                // 00000000A824: 85143C24
	v_readlane_b32 s82, v3, 9                                  // 00000000A828: D2890052 00011303
	s_and_b32 s82, s82, 0xffffff                               // 00000000A830: 8652FF52 00FFFFFF
	s_cmp_lt_u32 s82, s66                                      // 00000000A838: BF0A4252
	s_cselect_b32 s21, s36, s60                                // 00000000A83C: 85153C24
	s_mov_b64 exec, s[20:21]                                   // 00000000A840: BEFE0114
	global_atomic_add_f32 v6, v126, s[8:9] offset:8            // 00000000A844: DD348008 00087E06
	global_atomic_add_f32 v6, v130, s[8:9] offset:264          // 00000000A84C: DD348108 00088206
	global_atomic_add_f32 v6, v134, s[8:9] offset:520          // 00000000A854: DD348208 00088606
	global_atomic_add_f32 v6, v138, s[8:9] offset:776          // 00000000A85C: DD348308 00088A06
	global_atomic_add_f32 v6, v142, s[8:9] offset:1032         // 00000000A864: DD348408 00088E06
	global_atomic_add_f32 v6, v146, s[8:9] offset:1288         // 00000000A86C: DD348508 00089206
	global_atomic_add_f32 v6, v150, s[8:9] offset:1544         // 00000000A874: DD348608 00089606
	global_atomic_add_f32 v6, v154, s[8:9] offset:1800         // 00000000A87C: DD348708 00089A06
	s_mov_b64 exec, s[36:37]                                   // 00000000A884: BEFE0124
	v_mov_b32_e32 v6, v48                                      // 00000000A888: 7E0C0330
	s_mov_b64 s[60:61], 0                                      // 00000000A88C: BEBC0180
	v_readlane_b32 s82, v3, 10                                 // 00000000A890: D2890052 00011503
	s_and_b32 s82, s82, 0xffffff                               // 00000000A898: 8652FF52 00FFFFFF
	s_cmp_lt_u32 s82, s66                                      // 00000000A8A0: BF0A4252
	s_cselect_b32 s20, s36, s60                                // 00000000A8A4: 85143C24
	v_readlane_b32 s82, v3, 11                                 // 00000000A8A8: D2890052 00011703
	s_and_b32 s82, s82, 0xffffff                               // 00000000A8B0: 8652FF52 00FFFFFF
	s_cmp_lt_u32 s82, s66                                      // 00000000A8B8: BF0A4252
	s_cselect_b32 s21, s36, s60                                // 00000000A8BC: 85153C24
	s_mov_b64 exec, s[20:21]                                   // 00000000A8C0: BEFE0114
	global_atomic_add_f32 v6, v127, s[8:9] offset:8            // 00000000A8C4: DD348008 00087F06
	global_atomic_add_f32 v6, v131, s[8:9] offset:264          // 00000000A8CC: DD348108 00088306
	global_atomic_add_f32 v6, v135, s[8:9] offset:520          // 00000000A8D4: DD348208 00088706
	global_atomic_add_f32 v6, v139, s[8:9] offset:776          // 00000000A8DC: DD348308 00088B06
	global_atomic_add_f32 v6, v143, s[8:9] offset:1032         // 00000000A8E4: DD348408 00088F06
	global_atomic_add_f32 v6, v147, s[8:9] offset:1288         // 00000000A8EC: DD348508 00089306
	global_atomic_add_f32 v6, v151, s[8:9] offset:1544         // 00000000A8F4: DD348608 00089706
	global_atomic_add_f32 v6, v155, s[8:9] offset:1800         // 00000000A8FC: DD348708 00089B06
	s_mov_b64 exec, s[36:37]                                   // 00000000A904: BEFE0124
	ds_write_b64 v20, v[156:157]                               // 00000000A908: D89A0000 00009C14
	ds_write_b64 v20, v[160:161] offset:17408                  // 00000000A910: D89A4400 0000A014
	ds_write_b64 v20, v[164:165] offset:34816                  // 00000000A918: D89A8800 0000A414
	ds_write_b64 v20, v[168:169] offset:2176                   // 00000000A920: D89A0880 0000A814
	ds_write_b64 v20, v[172:173] offset:19584                  // 00000000A928: D89A4C80 0000AC14
	ds_write_b64 v20, v[176:177] offset:36992                  // 00000000A930: D89A9080 0000B014
	ds_write_b64 v20, v[180:181] offset:4352                   // 00000000A938: D89A1100 0000B414
	ds_write_b64 v20, v[184:185] offset:21760                  // 00000000A940: D89A5500 0000B814
	ds_write_b64 v20, v[188:189] offset:39168                  // 00000000A948: D89A9900 0000BC14
	ds_write_b64 v20, v[192:193] offset:6528                   // 00000000A950: D89A1980 0000C014
	ds_write_b64 v20, v[196:197] offset:23936                  // 00000000A958: D89A5D80 0000C414
	ds_write_b64 v20, v[200:201] offset:41344                  // 00000000A960: D89AA180 0000C814
	ds_write_b64 v20, v[204:205] offset:8704                   // 00000000A968: D89A2200 0000CC14
	ds_write_b64 v20, v[208:209] offset:26112                  // 00000000A970: D89A6600 0000D014
	ds_write_b64 v20, v[212:213] offset:43520                  // 00000000A978: D89AAA00 0000D414
	ds_write_b64 v20, v[216:217] offset:10880                  // 00000000A980: D89A2A80 0000D814
	ds_write_b64 v20, v[220:221] offset:28288                  // 00000000A988: D89A6E80 0000DC14
	ds_write_b64 v20, v[224:225] offset:45696                  // 00000000A990: D89AB280 0000E014
	ds_write_b64 v20, v[228:229] offset:13056                  // 00000000A998: D89A3300 0000E414
	ds_write_b64 v20, v[232:233] offset:30464                  // 00000000A9A0: D89A7700 0000E814
	ds_write_b64 v20, v[236:237] offset:47872                  // 00000000A9A8: D89ABB00 0000EC14
	ds_write_b64 v20, v[240:241] offset:15232                  // 00000000A9B0: D89A3B80 0000F014
	ds_write_b64 v20, v[244:245] offset:32640                  // 00000000A9B8: D89A7F80 0000F414
	ds_write_b64 v20, v[248:249] offset:50048                  // 00000000A9C0: D89AC380 0000F814
	s_waitcnt lgkmcnt(0)                                       // 00000000A9C8: BF8CC07F
	s_barrier                                                  // 00000000A9CC: BF8A0000
	ds_read_b32 v156, v21                                      // 00000000A9D0: D86C0000 9C000015
	ds_read_b32 v157, v21 offset:64                            // 00000000A9D8: D86C0040 9D000015
	ds_read_b32 v160, v21 offset:2176                          // 00000000A9E0: D86C0880 A0000015
	ds_read_b32 v161, v21 offset:2240                          // 00000000A9E8: D86C08C0 A1000015
	ds_read_b32 v164, v21 offset:4352                          // 00000000A9F0: D86C1100 A4000015
	ds_read_b32 v165, v21 offset:4416                          // 00000000A9F8: D86C1140 A5000015
	ds_read_b32 v168, v21 offset:6528                          // 00000000AA00: D86C1980 A8000015
	ds_read_b32 v169, v21 offset:6592                          // 00000000AA08: D86C19C0 A9000015
	ds_read_b32 v172, v21 offset:8704                          // 00000000AA10: D86C2200 AC000015
	ds_read_b32 v173, v21 offset:8768                          // 00000000AA18: D86C2240 AD000015
	ds_read_b32 v176, v21 offset:10880                         // 00000000AA20: D86C2A80 B0000015
	ds_read_b32 v177, v21 offset:10944                         // 00000000AA28: D86C2AC0 B1000015
	ds_read_b32 v180, v21 offset:13056                         // 00000000AA30: D86C3300 B4000015
	ds_read_b32 v181, v21 offset:13120                         // 00000000AA38: D86C3340 B5000015
	ds_read_b32 v184, v21 offset:15232                         // 00000000AA40: D86C3B80 B8000015
	ds_read_b32 v185, v21 offset:15296                         // 00000000AA48: D86C3BC0 B9000015
	ds_read_b32 v188, v21 offset:17408                         // 00000000AA50: D86C4400 BC000015
	ds_read_b32 v189, v21 offset:17472                         // 00000000AA58: D86C4440 BD000015
	ds_read_b32 v192, v21 offset:19584                         // 00000000AA60: D86C4C80 C0000015
	ds_read_b32 v193, v21 offset:19648                         // 00000000AA68: D86C4CC0 C1000015
	ds_read_b32 v196, v21 offset:21760                         // 00000000AA70: D86C5500 C4000015
	ds_read_b32 v197, v21 offset:21824                         // 00000000AA78: D86C5540 C5000015
	ds_read_b32 v200, v21 offset:23936                         // 00000000AA80: D86C5D80 C8000015
	ds_read_b32 v201, v21 offset:24000                         // 00000000AA88: D86C5DC0 C9000015
	ds_read_b32 v204, v21 offset:26112                         // 00000000AA90: D86C6600 CC000015
	ds_read_b32 v205, v21 offset:26176                         // 00000000AA98: D86C6640 CD000015
	ds_read_b32 v208, v21 offset:28288                         // 00000000AAA0: D86C6E80 D0000015
	ds_read_b32 v209, v21 offset:28352                         // 00000000AAA8: D86C6EC0 D1000015
	ds_read_b32 v212, v21 offset:30464                         // 00000000AAB0: D86C7700 D4000015
	ds_read_b32 v213, v21 offset:30528                         // 00000000AAB8: D86C7740 D5000015
	ds_read_b32 v216, v21 offset:32640                         // 00000000AAC0: D86C7F80 D8000015
	ds_read_b32 v217, v21 offset:32704                         // 00000000AAC8: D86C7FC0 D9000015
	ds_read_b32 v220, v21 offset:34816                         // 00000000AAD0: D86C8800 DC000015
	ds_read_b32 v221, v21 offset:34880                         // 00000000AAD8: D86C8840 DD000015
	ds_read_b32 v224, v21 offset:36992                         // 00000000AAE0: D86C9080 E0000015
	ds_read_b32 v225, v21 offset:37056                         // 00000000AAE8: D86C90C0 E1000015
	ds_read_b32 v228, v21 offset:39168                         // 00000000AAF0: D86C9900 E4000015
	ds_read_b32 v229, v21 offset:39232                         // 00000000AAF8: D86C9940 E5000015
	ds_read_b32 v232, v21 offset:41344                         // 00000000AB00: D86CA180 E8000015
	ds_read_b32 v233, v21 offset:41408                         // 00000000AB08: D86CA1C0 E9000015
	ds_read_b32 v236, v21 offset:43520                         // 00000000AB10: D86CAA00 EC000015
	ds_read_b32 v237, v21 offset:43584                         // 00000000AB18: D86CAA40 ED000015
	ds_read_b32 v240, v21 offset:45696                         // 00000000AB20: D86CB280 F0000015
	ds_read_b32 v241, v21 offset:45760                         // 00000000AB28: D86CB2C0 F1000015
	ds_read_b32 v244, v21 offset:47872                         // 00000000AB30: D86CBB00 F4000015
	ds_read_b32 v245, v21 offset:47936                         // 00000000AB38: D86CBB40 F5000015
	ds_read_b32 v248, v21 offset:50048                         // 00000000AB40: D86CC380 F8000015
	ds_read_b32 v249, v21 offset:50112                         // 00000000AB48: D86CC3C0 F9000015
	s_mul_i32 s60, s65, 4                                      // 00000000AB50: 923C8441
	s_add_u32 s8, s60, s8                                      // 00000000AB54: 8008083C
	s_addc_u32 s9, 0, s9                                       // 00000000AB58: 82090980
	s_waitcnt lgkmcnt(0)                                       // 00000000AB5C: BF8CC07F
	v_mov_b32_e32 v7, 0                                        // 00000000AB60: 7E0E0280
	s_mov_b64 exec, s[36:37]                                   // 00000000AB64: BEFE0124
	v_mov_b32_e32 v6, v43                                      // 00000000AB68: 7E0C032B
	s_mov_b64 s[60:61], 0                                      // 00000000AB6C: BEBC0180
	v_readlane_b32 s82, v3, 0                                  // 00000000AB70: D2890052 00010103
	s_and_b32 s82, s82, 0xffffff                               // 00000000AB78: 8652FF52 00FFFFFF
	s_cmp_lt_u32 s82, s66                                      // 00000000AB80: BF0A4252
	s_cselect_b32 s20, s36, s60                                // 00000000AB84: 85143C24
	v_readlane_b32 s82, v3, 1                                  // 00000000AB88: D2890052 00010303
	s_and_b32 s82, s82, 0xffffff                               // 00000000AB90: 8652FF52 00FFFFFF
	s_cmp_lt_u32 s82, s66                                      // 00000000AB98: BF0A4252
	s_cselect_b32 s21, s36, s60                                // 00000000AB9C: 85153C24
	s_mov_b64 exec, s[20:21]                                   // 00000000ABA0: BEFE0114
	global_atomic_add_f32 v6, v156, s[8:9]                     // 00000000ABA4: DD348000 00089C06
	global_atomic_add_f32 v6, v160, s[8:9] offset:256          // 00000000ABAC: DD348100 0008A006
	global_atomic_add_f32 v6, v164, s[8:9] offset:512          // 00000000ABB4: DD348200 0008A406
	global_atomic_add_f32 v6, v168, s[8:9] offset:768          // 00000000ABBC: DD348300 0008A806
	global_atomic_add_f32 v6, v172, s[8:9] offset:1024         // 00000000ABC4: DD348400 0008AC06
	global_atomic_add_f32 v6, v176, s[8:9] offset:1280         // 00000000ABCC: DD348500 0008B006
	global_atomic_add_f32 v6, v180, s[8:9] offset:1536         // 00000000ABD4: DD348600 0008B406
	global_atomic_add_f32 v6, v184, s[8:9] offset:1792         // 00000000ABDC: DD348700 0008B806
	s_mov_b64 exec, s[36:37]                                   // 00000000ABE4: BEFE0124
	v_mov_b32_e32 v6, v44                                      // 00000000ABE8: 7E0C032C
	s_mov_b64 s[60:61], 0                                      // 00000000ABEC: BEBC0180
	v_readlane_b32 s82, v3, 2                                  // 00000000ABF0: D2890052 00010503
	s_and_b32 s82, s82, 0xffffff                               // 00000000ABF8: 8652FF52 00FFFFFF
	s_cmp_lt_u32 s82, s66                                      // 00000000AC00: BF0A4252
	s_cselect_b32 s20, s36, s60                                // 00000000AC04: 85143C24
	v_readlane_b32 s82, v3, 3                                  // 00000000AC08: D2890052 00010703
	s_and_b32 s82, s82, 0xffffff                               // 00000000AC10: 8652FF52 00FFFFFF
	s_cmp_lt_u32 s82, s66                                      // 00000000AC18: BF0A4252
	s_cselect_b32 s21, s36, s60                                // 00000000AC1C: 85153C24
	s_mov_b64 exec, s[20:21]                                   // 00000000AC20: BEFE0114
	global_atomic_add_f32 v6, v157, s[8:9]                     // 00000000AC24: DD348000 00089D06
	global_atomic_add_f32 v6, v161, s[8:9] offset:256          // 00000000AC2C: DD348100 0008A106
	global_atomic_add_f32 v6, v165, s[8:9] offset:512          // 00000000AC34: DD348200 0008A506
	global_atomic_add_f32 v6, v169, s[8:9] offset:768          // 00000000AC3C: DD348300 0008A906
	global_atomic_add_f32 v6, v173, s[8:9] offset:1024         // 00000000AC44: DD348400 0008AD06
	global_atomic_add_f32 v6, v177, s[8:9] offset:1280         // 00000000AC4C: DD348500 0008B106
	global_atomic_add_f32 v6, v181, s[8:9] offset:1536         // 00000000AC54: DD348600 0008B506
	global_atomic_add_f32 v6, v185, s[8:9] offset:1792         // 00000000AC5C: DD348700 0008B906
	s_mov_b64 exec, s[36:37]                                   // 00000000AC64: BEFE0124
	v_mov_b32_e32 v6, v45                                      // 00000000AC68: 7E0C032D
	s_mov_b64 s[60:61], 0                                      // 00000000AC6C: BEBC0180
	v_readlane_b32 s82, v3, 4                                  // 00000000AC70: D2890052 00010903
	s_and_b32 s82, s82, 0xffffff                               // 00000000AC78: 8652FF52 00FFFFFF
	s_cmp_lt_u32 s82, s66                                      // 00000000AC80: BF0A4252
	s_cselect_b32 s20, s36, s60                                // 00000000AC84: 85143C24
	v_readlane_b32 s82, v3, 5                                  // 00000000AC88: D2890052 00010B03
	s_and_b32 s82, s82, 0xffffff                               // 00000000AC90: 8652FF52 00FFFFFF
	s_cmp_lt_u32 s82, s66                                      // 00000000AC98: BF0A4252
	s_cselect_b32 s21, s36, s60                                // 00000000AC9C: 85153C24
	s_mov_b64 exec, s[20:21]                                   // 00000000ACA0: BEFE0114
	global_atomic_add_f32 v6, v188, s[8:9]                     // 00000000ACA4: DD348000 0008BC06
	global_atomic_add_f32 v6, v192, s[8:9] offset:256          // 00000000ACAC: DD348100 0008C006
	global_atomic_add_f32 v6, v196, s[8:9] offset:512          // 00000000ACB4: DD348200 0008C406
	global_atomic_add_f32 v6, v200, s[8:9] offset:768          // 00000000ACBC: DD348300 0008C806
	global_atomic_add_f32 v6, v204, s[8:9] offset:1024         // 00000000ACC4: DD348400 0008CC06
	global_atomic_add_f32 v6, v208, s[8:9] offset:1280         // 00000000ACCC: DD348500 0008D006
	global_atomic_add_f32 v6, v212, s[8:9] offset:1536         // 00000000ACD4: DD348600 0008D406
	global_atomic_add_f32 v6, v216, s[8:9] offset:1792         // 00000000ACDC: DD348700 0008D806
	s_mov_b64 exec, s[36:37]                                   // 00000000ACE4: BEFE0124
	v_mov_b32_e32 v6, v46                                      // 00000000ACE8: 7E0C032E
	s_mov_b64 s[60:61], 0                                      // 00000000ACEC: BEBC0180
	v_readlane_b32 s82, v3, 6                                  // 00000000ACF0: D2890052 00010D03
	s_and_b32 s82, s82, 0xffffff                               // 00000000ACF8: 8652FF52 00FFFFFF
	s_cmp_lt_u32 s82, s66                                      // 00000000AD00: BF0A4252
	s_cselect_b32 s20, s36, s60                                // 00000000AD04: 85143C24
	v_readlane_b32 s82, v3, 7                                  // 00000000AD08: D2890052 00010F03
	s_and_b32 s82, s82, 0xffffff                               // 00000000AD10: 8652FF52 00FFFFFF
	s_cmp_lt_u32 s82, s66                                      // 00000000AD18: BF0A4252
	s_cselect_b32 s21, s36, s60                                // 00000000AD1C: 85153C24
	s_mov_b64 exec, s[20:21]                                   // 00000000AD20: BEFE0114
	global_atomic_add_f32 v6, v189, s[8:9]                     // 00000000AD24: DD348000 0008BD06
	global_atomic_add_f32 v6, v193, s[8:9] offset:256          // 00000000AD2C: DD348100 0008C106
	global_atomic_add_f32 v6, v197, s[8:9] offset:512          // 00000000AD34: DD348200 0008C506
	global_atomic_add_f32 v6, v201, s[8:9] offset:768          // 00000000AD3C: DD348300 0008C906
	global_atomic_add_f32 v6, v205, s[8:9] offset:1024         // 00000000AD44: DD348400 0008CD06
	global_atomic_add_f32 v6, v209, s[8:9] offset:1280         // 00000000AD4C: DD348500 0008D106
	global_atomic_add_f32 v6, v213, s[8:9] offset:1536         // 00000000AD54: DD348600 0008D506
	global_atomic_add_f32 v6, v217, s[8:9] offset:1792         // 00000000AD5C: DD348700 0008D906
	s_mov_b64 exec, s[36:37]                                   // 00000000AD64: BEFE0124
	v_mov_b32_e32 v6, v47                                      // 00000000AD68: 7E0C032F
	s_mov_b64 s[60:61], 0                                      // 00000000AD6C: BEBC0180
	v_readlane_b32 s82, v3, 8                                  // 00000000AD70: D2890052 00011103
	s_and_b32 s82, s82, 0xffffff                               // 00000000AD78: 8652FF52 00FFFFFF
	s_cmp_lt_u32 s82, s66                                      // 00000000AD80: BF0A4252
	s_cselect_b32 s20, s36, s60                                // 00000000AD84: 85143C24
	v_readlane_b32 s82, v3, 9                                  // 00000000AD88: D2890052 00011303
	s_and_b32 s82, s82, 0xffffff                               // 00000000AD90: 8652FF52 00FFFFFF
	s_cmp_lt_u32 s82, s66                                      // 00000000AD98: BF0A4252
	s_cselect_b32 s21, s36, s60                                // 00000000AD9C: 85153C24
	s_mov_b64 exec, s[20:21]                                   // 00000000ADA0: BEFE0114
	global_atomic_add_f32 v6, v220, s[8:9]                     // 00000000ADA4: DD348000 0008DC06
	global_atomic_add_f32 v6, v224, s[8:9] offset:256          // 00000000ADAC: DD348100 0008E006
	global_atomic_add_f32 v6, v228, s[8:9] offset:512          // 00000000ADB4: DD348200 0008E406
	global_atomic_add_f32 v6, v232, s[8:9] offset:768          // 00000000ADBC: DD348300 0008E806
	global_atomic_add_f32 v6, v236, s[8:9] offset:1024         // 00000000ADC4: DD348400 0008EC06
	global_atomic_add_f32 v6, v240, s[8:9] offset:1280         // 00000000ADCC: DD348500 0008F006
	global_atomic_add_f32 v6, v244, s[8:9] offset:1536         // 00000000ADD4: DD348600 0008F406
	global_atomic_add_f32 v6, v248, s[8:9] offset:1792         // 00000000ADDC: DD348700 0008F806
	s_mov_b64 exec, s[36:37]                                   // 00000000ADE4: BEFE0124
	v_mov_b32_e32 v6, v48                                      // 00000000ADE8: 7E0C0330
	s_mov_b64 s[60:61], 0                                      // 00000000ADEC: BEBC0180
	v_readlane_b32 s82, v3, 10                                 // 00000000ADF0: D2890052 00011503
	s_and_b32 s82, s82, 0xffffff                               // 00000000ADF8: 8652FF52 00FFFFFF
	s_cmp_lt_u32 s82, s66                                      // 00000000AE00: BF0A4252
	s_cselect_b32 s20, s36, s60                                // 00000000AE04: 85143C24
	v_readlane_b32 s82, v3, 11                                 // 00000000AE08: D2890052 00011703
	s_and_b32 s82, s82, 0xffffff                               // 00000000AE10: 8652FF52 00FFFFFF
	s_cmp_lt_u32 s82, s66                                      // 00000000AE18: BF0A4252
	s_cselect_b32 s21, s36, s60                                // 00000000AE1C: 85153C24
	s_mov_b64 exec, s[20:21]                                   // 00000000AE20: BEFE0114
	global_atomic_add_f32 v6, v221, s[8:9]                     // 00000000AE24: DD348000 0008DD06
	global_atomic_add_f32 v6, v225, s[8:9] offset:256          // 00000000AE2C: DD348100 0008E106
	global_atomic_add_f32 v6, v229, s[8:9] offset:512          // 00000000AE34: DD348200 0008E506
	global_atomic_add_f32 v6, v233, s[8:9] offset:768          // 00000000AE3C: DD348300 0008E906
	global_atomic_add_f32 v6, v237, s[8:9] offset:1024         // 00000000AE44: DD348400 0008ED06
	global_atomic_add_f32 v6, v241, s[8:9] offset:1280         // 00000000AE4C: DD348500 0008F106
	global_atomic_add_f32 v6, v245, s[8:9] offset:1536         // 00000000AE54: DD348600 0008F506
	global_atomic_add_f32 v6, v249, s[8:9] offset:1792         // 00000000AE5C: DD348700 0008F906
	s_mov_b64 exec, s[36:37]                                   // 00000000AE64: BEFE0124
	ds_write_b64 v20, v[158:159]                               // 00000000AE68: D89A0000 00009E14
	ds_write_b64 v20, v[162:163] offset:17408                  // 00000000AE70: D89A4400 0000A214
	ds_write_b64 v20, v[166:167] offset:34816                  // 00000000AE78: D89A8800 0000A614
	ds_write_b64 v20, v[170:171] offset:2176                   // 00000000AE80: D89A0880 0000AA14
	ds_write_b64 v20, v[174:175] offset:19584                  // 00000000AE88: D89A4C80 0000AE14
	ds_write_b64 v20, v[178:179] offset:36992                  // 00000000AE90: D89A9080 0000B214
	ds_write_b64 v20, v[182:183] offset:4352                   // 00000000AE98: D89A1100 0000B614
	ds_write_b64 v20, v[186:187] offset:21760                  // 00000000AEA0: D89A5500 0000BA14
	ds_write_b64 v20, v[190:191] offset:39168                  // 00000000AEA8: D89A9900 0000BE14
	ds_write_b64 v20, v[194:195] offset:6528                   // 00000000AEB0: D89A1980 0000C214
	ds_write_b64 v20, v[198:199] offset:23936                  // 00000000AEB8: D89A5D80 0000C614
	ds_write_b64 v20, v[202:203] offset:41344                  // 00000000AEC0: D89AA180 0000CA14
	ds_write_b64 v20, v[206:207] offset:8704                   // 00000000AEC8: D89A2200 0000CE14
	ds_write_b64 v20, v[210:211] offset:26112                  // 00000000AED0: D89A6600 0000D214
	ds_write_b64 v20, v[214:215] offset:43520                  // 00000000AED8: D89AAA00 0000D614
	ds_write_b64 v20, v[218:219] offset:10880                  // 00000000AEE0: D89A2A80 0000DA14
	ds_write_b64 v20, v[222:223] offset:28288                  // 00000000AEE8: D89A6E80 0000DE14
	ds_write_b64 v20, v[226:227] offset:45696                  // 00000000AEF0: D89AB280 0000E214
	ds_write_b64 v20, v[230:231] offset:13056                  // 00000000AEF8: D89A3300 0000E614
	ds_write_b64 v20, v[234:235] offset:30464                  // 00000000AF00: D89A7700 0000EA14
	ds_write_b64 v20, v[238:239] offset:47872                  // 00000000AF08: D89ABB00 0000EE14
	ds_write_b64 v20, v[242:243] offset:15232                  // 00000000AF10: D89A3B80 0000F214
	ds_write_b64 v20, v[246:247] offset:32640                  // 00000000AF18: D89A7F80 0000F614
	ds_write_b64 v20, v[250:251] offset:50048                  // 00000000AF20: D89AC380 0000FA14
	s_waitcnt lgkmcnt(0)                                       // 00000000AF28: BF8CC07F
	s_barrier                                                  // 00000000AF2C: BF8A0000
	ds_read_b32 v158, v21                                      // 00000000AF30: D86C0000 9E000015
	ds_read_b32 v159, v21 offset:64                            // 00000000AF38: D86C0040 9F000015
	ds_read_b32 v162, v21 offset:2176                          // 00000000AF40: D86C0880 A2000015
	ds_read_b32 v163, v21 offset:2240                          // 00000000AF48: D86C08C0 A3000015
	ds_read_b32 v166, v21 offset:4352                          // 00000000AF50: D86C1100 A6000015
	ds_read_b32 v167, v21 offset:4416                          // 00000000AF58: D86C1140 A7000015
	ds_read_b32 v170, v21 offset:6528                          // 00000000AF60: D86C1980 AA000015
	ds_read_b32 v171, v21 offset:6592                          // 00000000AF68: D86C19C0 AB000015
	ds_read_b32 v174, v21 offset:8704                          // 00000000AF70: D86C2200 AE000015
	ds_read_b32 v175, v21 offset:8768                          // 00000000AF78: D86C2240 AF000015
	ds_read_b32 v178, v21 offset:10880                         // 00000000AF80: D86C2A80 B2000015
	ds_read_b32 v179, v21 offset:10944                         // 00000000AF88: D86C2AC0 B3000015
	ds_read_b32 v182, v21 offset:13056                         // 00000000AF90: D86C3300 B6000015
	ds_read_b32 v183, v21 offset:13120                         // 00000000AF98: D86C3340 B7000015
	ds_read_b32 v186, v21 offset:15232                         // 00000000AFA0: D86C3B80 BA000015
	ds_read_b32 v187, v21 offset:15296                         // 00000000AFA8: D86C3BC0 BB000015
	ds_read_b32 v190, v21 offset:17408                         // 00000000AFB0: D86C4400 BE000015
	ds_read_b32 v191, v21 offset:17472                         // 00000000AFB8: D86C4440 BF000015
	ds_read_b32 v194, v21 offset:19584                         // 00000000AFC0: D86C4C80 C2000015
	ds_read_b32 v195, v21 offset:19648                         // 00000000AFC8: D86C4CC0 C3000015
	ds_read_b32 v198, v21 offset:21760                         // 00000000AFD0: D86C5500 C6000015
	ds_read_b32 v199, v21 offset:21824                         // 00000000AFD8: D86C5540 C7000015
	ds_read_b32 v202, v21 offset:23936                         // 00000000AFE0: D86C5D80 CA000015
	ds_read_b32 v203, v21 offset:24000                         // 00000000AFE8: D86C5DC0 CB000015
	ds_read_b32 v206, v21 offset:26112                         // 00000000AFF0: D86C6600 CE000015
	ds_read_b32 v207, v21 offset:26176                         // 00000000AFF8: D86C6640 CF000015
	ds_read_b32 v210, v21 offset:28288                         // 00000000B000: D86C6E80 D2000015
	ds_read_b32 v211, v21 offset:28352                         // 00000000B008: D86C6EC0 D3000015
	ds_read_b32 v214, v21 offset:30464                         // 00000000B010: D86C7700 D6000015
	ds_read_b32 v215, v21 offset:30528                         // 00000000B018: D86C7740 D7000015
	ds_read_b32 v218, v21 offset:32640                         // 00000000B020: D86C7F80 DA000015
	ds_read_b32 v219, v21 offset:32704                         // 00000000B028: D86C7FC0 DB000015
	ds_read_b32 v222, v21 offset:34816                         // 00000000B030: D86C8800 DE000015
	ds_read_b32 v223, v21 offset:34880                         // 00000000B038: D86C8840 DF000015
	ds_read_b32 v226, v21 offset:36992                         // 00000000B040: D86C9080 E2000015
	ds_read_b32 v227, v21 offset:37056                         // 00000000B048: D86C90C0 E3000015
	ds_read_b32 v230, v21 offset:39168                         // 00000000B050: D86C9900 E6000015
	ds_read_b32 v231, v21 offset:39232                         // 00000000B058: D86C9940 E7000015
	ds_read_b32 v234, v21 offset:41344                         // 00000000B060: D86CA180 EA000015
	ds_read_b32 v235, v21 offset:41408                         // 00000000B068: D86CA1C0 EB000015
	ds_read_b32 v238, v21 offset:43520                         // 00000000B070: D86CAA00 EE000015
	ds_read_b32 v239, v21 offset:43584                         // 00000000B078: D86CAA40 EF000015
	ds_read_b32 v242, v21 offset:45696                         // 00000000B080: D86CB280 F2000015
	ds_read_b32 v243, v21 offset:45760                         // 00000000B088: D86CB2C0 F3000015
	ds_read_b32 v246, v21 offset:47872                         // 00000000B090: D86CBB00 F6000015
	ds_read_b32 v247, v21 offset:47936                         // 00000000B098: D86CBB40 F7000015
	ds_read_b32 v250, v21 offset:50048                         // 00000000B0A0: D86CC380 FA000015
	ds_read_b32 v251, v21 offset:50112                         // 00000000B0A8: D86CC3C0 FB000015
	s_waitcnt lgkmcnt(0)                                       // 00000000B0B0: BF8CC07F
	v_mov_b32_e32 v7, 0                                        // 00000000B0B4: 7E0E0280
	s_mov_b64 exec, s[36:37]                                   // 00000000B0B8: BEFE0124
	v_mov_b32_e32 v6, v43                                      // 00000000B0BC: 7E0C032B
	s_mov_b64 s[60:61], 0                                      // 00000000B0C0: BEBC0180
	v_readlane_b32 s82, v3, 0                                  // 00000000B0C4: D2890052 00010103
	s_and_b32 s82, s82, 0xffffff                               // 00000000B0CC: 8652FF52 00FFFFFF
	s_cmp_lt_u32 s82, s66                                      // 00000000B0D4: BF0A4252
	s_cselect_b32 s20, s36, s60                                // 00000000B0D8: 85143C24
	v_readlane_b32 s82, v3, 1                                  // 00000000B0DC: D2890052 00010303
	s_and_b32 s82, s82, 0xffffff                               // 00000000B0E4: 8652FF52 00FFFFFF
	s_cmp_lt_u32 s82, s66                                      // 00000000B0EC: BF0A4252
	s_cselect_b32 s21, s36, s60                                // 00000000B0F0: 85153C24
	s_mov_b64 exec, s[20:21]                                   // 00000000B0F4: BEFE0114
	global_atomic_add_f32 v6, v158, s[8:9] offset:8            // 00000000B0F8: DD348008 00089E06
	global_atomic_add_f32 v6, v162, s[8:9] offset:264          // 00000000B100: DD348108 0008A206
	global_atomic_add_f32 v6, v166, s[8:9] offset:520          // 00000000B108: DD348208 0008A606
	global_atomic_add_f32 v6, v170, s[8:9] offset:776          // 00000000B110: DD348308 0008AA06
	global_atomic_add_f32 v6, v174, s[8:9] offset:1032         // 00000000B118: DD348408 0008AE06
	global_atomic_add_f32 v6, v178, s[8:9] offset:1288         // 00000000B120: DD348508 0008B206
	global_atomic_add_f32 v6, v182, s[8:9] offset:1544         // 00000000B128: DD348608 0008B606
	global_atomic_add_f32 v6, v186, s[8:9] offset:1800         // 00000000B130: DD348708 0008BA06
	s_mov_b64 exec, s[36:37]                                   // 00000000B138: BEFE0124
	v_mov_b32_e32 v6, v44                                      // 00000000B13C: 7E0C032C
	s_mov_b64 s[60:61], 0                                      // 00000000B140: BEBC0180
	v_readlane_b32 s82, v3, 2                                  // 00000000B144: D2890052 00010503
	s_and_b32 s82, s82, 0xffffff                               // 00000000B14C: 8652FF52 00FFFFFF
	s_cmp_lt_u32 s82, s66                                      // 00000000B154: BF0A4252
	s_cselect_b32 s20, s36, s60                                // 00000000B158: 85143C24
	v_readlane_b32 s82, v3, 3                                  // 00000000B15C: D2890052 00010703
	s_and_b32 s82, s82, 0xffffff                               // 00000000B164: 8652FF52 00FFFFFF
	s_cmp_lt_u32 s82, s66                                      // 00000000B16C: BF0A4252
	s_cselect_b32 s21, s36, s60                                // 00000000B170: 85153C24
	s_mov_b64 exec, s[20:21]                                   // 00000000B174: BEFE0114
	global_atomic_add_f32 v6, v159, s[8:9] offset:8            // 00000000B178: DD348008 00089F06
	global_atomic_add_f32 v6, v163, s[8:9] offset:264          // 00000000B180: DD348108 0008A306
	global_atomic_add_f32 v6, v167, s[8:9] offset:520          // 00000000B188: DD348208 0008A706
	global_atomic_add_f32 v6, v171, s[8:9] offset:776          // 00000000B190: DD348308 0008AB06
	global_atomic_add_f32 v6, v175, s[8:9] offset:1032         // 00000000B198: DD348408 0008AF06
	global_atomic_add_f32 v6, v179, s[8:9] offset:1288         // 00000000B1A0: DD348508 0008B306
	global_atomic_add_f32 v6, v183, s[8:9] offset:1544         // 00000000B1A8: DD348608 0008B706
	global_atomic_add_f32 v6, v187, s[8:9] offset:1800         // 00000000B1B0: DD348708 0008BB06
	s_mov_b64 exec, s[36:37]                                   // 00000000B1B8: BEFE0124
	v_mov_b32_e32 v6, v45                                      // 00000000B1BC: 7E0C032D
	s_mov_b64 s[60:61], 0                                      // 00000000B1C0: BEBC0180
	v_readlane_b32 s82, v3, 4                                  // 00000000B1C4: D2890052 00010903
	s_and_b32 s82, s82, 0xffffff                               // 00000000B1CC: 8652FF52 00FFFFFF
	s_cmp_lt_u32 s82, s66                                      // 00000000B1D4: BF0A4252
	s_cselect_b32 s20, s36, s60                                // 00000000B1D8: 85143C24
	v_readlane_b32 s82, v3, 5                                  // 00000000B1DC: D2890052 00010B03
	s_and_b32 s82, s82, 0xffffff                               // 00000000B1E4: 8652FF52 00FFFFFF
	s_cmp_lt_u32 s82, s66                                      // 00000000B1EC: BF0A4252
	s_cselect_b32 s21, s36, s60                                // 00000000B1F0: 85153C24
	s_mov_b64 exec, s[20:21]                                   // 00000000B1F4: BEFE0114
	global_atomic_add_f32 v6, v190, s[8:9] offset:8            // 00000000B1F8: DD348008 0008BE06
	global_atomic_add_f32 v6, v194, s[8:9] offset:264          // 00000000B200: DD348108 0008C206
	global_atomic_add_f32 v6, v198, s[8:9] offset:520          // 00000000B208: DD348208 0008C606
	global_atomic_add_f32 v6, v202, s[8:9] offset:776          // 00000000B210: DD348308 0008CA06
	global_atomic_add_f32 v6, v206, s[8:9] offset:1032         // 00000000B218: DD348408 0008CE06
	global_atomic_add_f32 v6, v210, s[8:9] offset:1288         // 00000000B220: DD348508 0008D206
	global_atomic_add_f32 v6, v214, s[8:9] offset:1544         // 00000000B228: DD348608 0008D606
	global_atomic_add_f32 v6, v218, s[8:9] offset:1800         // 00000000B230: DD348708 0008DA06
	s_mov_b64 exec, s[36:37]                                   // 00000000B238: BEFE0124
	v_mov_b32_e32 v6, v46                                      // 00000000B23C: 7E0C032E
	s_mov_b64 s[60:61], 0                                      // 00000000B240: BEBC0180
	v_readlane_b32 s82, v3, 6                                  // 00000000B244: D2890052 00010D03
	s_and_b32 s82, s82, 0xffffff                               // 00000000B24C: 8652FF52 00FFFFFF
	s_cmp_lt_u32 s82, s66                                      // 00000000B254: BF0A4252
	s_cselect_b32 s20, s36, s60                                // 00000000B258: 85143C24
	v_readlane_b32 s82, v3, 7                                  // 00000000B25C: D2890052 00010F03
	s_and_b32 s82, s82, 0xffffff                               // 00000000B264: 8652FF52 00FFFFFF
	s_cmp_lt_u32 s82, s66                                      // 00000000B26C: BF0A4252
	s_cselect_b32 s21, s36, s60                                // 00000000B270: 85153C24
	s_mov_b64 exec, s[20:21]                                   // 00000000B274: BEFE0114
	global_atomic_add_f32 v6, v191, s[8:9] offset:8            // 00000000B278: DD348008 0008BF06
	global_atomic_add_f32 v6, v195, s[8:9] offset:264          // 00000000B280: DD348108 0008C306
	global_atomic_add_f32 v6, v199, s[8:9] offset:520          // 00000000B288: DD348208 0008C706
	global_atomic_add_f32 v6, v203, s[8:9] offset:776          // 00000000B290: DD348308 0008CB06
	global_atomic_add_f32 v6, v207, s[8:9] offset:1032         // 00000000B298: DD348408 0008CF06
	global_atomic_add_f32 v6, v211, s[8:9] offset:1288         // 00000000B2A0: DD348508 0008D306
	global_atomic_add_f32 v6, v215, s[8:9] offset:1544         // 00000000B2A8: DD348608 0008D706
	global_atomic_add_f32 v6, v219, s[8:9] offset:1800         // 00000000B2B0: DD348708 0008DB06
	s_mov_b64 exec, s[36:37]                                   // 00000000B2B8: BEFE0124
	v_mov_b32_e32 v6, v47                                      // 00000000B2BC: 7E0C032F
	s_mov_b64 s[60:61], 0                                      // 00000000B2C0: BEBC0180
	v_readlane_b32 s82, v3, 8                                  // 00000000B2C4: D2890052 00011103
	s_and_b32 s82, s82, 0xffffff                               // 00000000B2CC: 8652FF52 00FFFFFF
	s_cmp_lt_u32 s82, s66                                      // 00000000B2D4: BF0A4252
	s_cselect_b32 s20, s36, s60                                // 00000000B2D8: 85143C24
	v_readlane_b32 s82, v3, 9                                  // 00000000B2DC: D2890052 00011303
	s_and_b32 s82, s82, 0xffffff                               // 00000000B2E4: 8652FF52 00FFFFFF
	s_cmp_lt_u32 s82, s66                                      // 00000000B2EC: BF0A4252
	s_cselect_b32 s21, s36, s60                                // 00000000B2F0: 85153C24
	s_mov_b64 exec, s[20:21]                                   // 00000000B2F4: BEFE0114
	global_atomic_add_f32 v6, v222, s[8:9] offset:8            // 00000000B2F8: DD348008 0008DE06
	global_atomic_add_f32 v6, v226, s[8:9] offset:264          // 00000000B300: DD348108 0008E206
	global_atomic_add_f32 v6, v230, s[8:9] offset:520          // 00000000B308: DD348208 0008E606
	global_atomic_add_f32 v6, v234, s[8:9] offset:776          // 00000000B310: DD348308 0008EA06
	global_atomic_add_f32 v6, v238, s[8:9] offset:1032         // 00000000B318: DD348408 0008EE06
	global_atomic_add_f32 v6, v242, s[8:9] offset:1288         // 00000000B320: DD348508 0008F206
	global_atomic_add_f32 v6, v246, s[8:9] offset:1544         // 00000000B328: DD348608 0008F606
	global_atomic_add_f32 v6, v250, s[8:9] offset:1800         // 00000000B330: DD348708 0008FA06
	s_mov_b64 exec, s[36:37]                                   // 00000000B338: BEFE0124
	v_mov_b32_e32 v6, v48                                      // 00000000B33C: 7E0C0330
	s_mov_b64 s[60:61], 0                                      // 00000000B340: BEBC0180
	v_readlane_b32 s82, v3, 10                                 // 00000000B344: D2890052 00011503
	s_and_b32 s82, s82, 0xffffff                               // 00000000B34C: 8652FF52 00FFFFFF
	s_cmp_lt_u32 s82, s66                                      // 00000000B354: BF0A4252
	s_cselect_b32 s20, s36, s60                                // 00000000B358: 85143C24
	v_readlane_b32 s82, v3, 11                                 // 00000000B35C: D2890052 00011703
	s_and_b32 s82, s82, 0xffffff                               // 00000000B364: 8652FF52 00FFFFFF
	s_cmp_lt_u32 s82, s66                                      // 00000000B36C: BF0A4252
	s_cselect_b32 s21, s36, s60                                // 00000000B370: 85153C24
	s_mov_b64 exec, s[20:21]                                   // 00000000B374: BEFE0114
	global_atomic_add_f32 v6, v223, s[8:9] offset:8            // 00000000B378: DD348008 0008DF06
	global_atomic_add_f32 v6, v227, s[8:9] offset:264          // 00000000B380: DD348108 0008E306
	global_atomic_add_f32 v6, v231, s[8:9] offset:520          // 00000000B388: DD348208 0008E706
	global_atomic_add_f32 v6, v235, s[8:9] offset:776          // 00000000B390: DD348308 0008EB06
	global_atomic_add_f32 v6, v239, s[8:9] offset:1032         // 00000000B398: DD348408 0008EF06
	global_atomic_add_f32 v6, v243, s[8:9] offset:1288         // 00000000B3A0: DD348508 0008F306
	global_atomic_add_f32 v6, v247, s[8:9] offset:1544         // 00000000B3A8: DD348608 0008F706
	global_atomic_add_f32 v6, v251, s[8:9] offset:1800         // 00000000B3B0: DD348708 0008FB06
	s_mov_b64 exec, s[36:37]                                   // 00000000B3B8: BEFE0124
	s_branch label_41E4                                        // 00000000B3BC: BF821F71

000000000000b3c0 <label_2273>:
	s_waitcnt vmcnt(22) lgkmcnt(0)                             // 00000000B3C0: BF8C4076
	v_mfma_f32_16x16x32_fp8_fp8 v[60:63], a[48:49], a[0:1], v[60:63]// 00000000B3C4: D3F3003C 1CF20130
	buffer_load_dwordx4 a[176:179], v49, s[24:27], 0 offen     // 00000000B3CC: E05C1000 8086B031
	v_mfma_f32_16x16x32_fp8_fp8 v[60:63], a[50:51], a[2:3], v[60:63]// 00000000B3D4: D3F3003C 1CF20532
	v_mfma_f32_16x16x32_fp8_fp8 v[60:63], a[52:53], a[4:5], v[60:63]// 00000000B3DC: D3F3003C 1CF20934
	v_mfma_f32_16x16x32_fp8_fp8 v[60:63], a[54:55], a[6:7], v[60:63]// 00000000B3E4: D3F3003C 1CF20D36
	v_mfma_f32_16x16x32_fp8_fp8 v[72:75], a[56:57], a[0:1], v[72:75]// 00000000B3EC: D3F30048 1D220138
	buffer_load_dwordx4 a[180:183], v49, s[24:27], 0 offen offset:1024// 00000000B3F4: E05C1400 8086B431
	v_mfma_f32_16x16x32_fp8_fp8 v[72:75], a[58:59], a[2:3], v[72:75]// 00000000B3FC: D3F30048 1D22053A
	v_mfma_f32_16x16x32_fp8_fp8 v[72:75], a[60:61], a[4:5], v[72:75]// 00000000B404: D3F30048 1D22093C
	v_mfma_f32_16x16x32_fp8_fp8 v[72:75], a[62:63], a[6:7], v[72:75]// 00000000B40C: D3F30048 1D220D3E
	v_mfma_f32_16x16x32_fp8_fp8 v[84:87], a[64:65], a[0:1], v[84:87]// 00000000B414: D3F30054 1D520140
	buffer_load_dwordx4 a[184:187], v50, s[24:27], 0 offen     // 00000000B41C: E05C1000 8086B832
	v_mfma_f32_16x16x32_fp8_fp8 v[84:87], a[66:67], a[2:3], v[84:87]// 00000000B424: D3F30054 1D520542
	v_mfma_f32_16x16x32_fp8_fp8 v[84:87], a[68:69], a[4:5], v[84:87]// 00000000B42C: D3F30054 1D520944
	v_mfma_f32_16x16x32_fp8_fp8 v[84:87], a[70:71], a[6:7], v[84:87]// 00000000B434: D3F30054 1D520D46
	v_mfma_f32_16x16x32_fp8_fp8 v[96:99], a[72:73], a[0:1], v[96:99]// 00000000B43C: D3F30060 1D820148
	buffer_load_dwordx4 a[188:191], v50, s[24:27], 0 offen offset:1024// 00000000B444: E05C1400 8086BC32
	v_mfma_f32_16x16x32_fp8_fp8 v[96:99], a[74:75], a[2:3], v[96:99]// 00000000B44C: D3F30060 1D82054A
	v_mfma_f32_16x16x32_fp8_fp8 v[96:99], a[76:77], a[4:5], v[96:99]// 00000000B454: D3F30060 1D82094C
	v_mfma_f32_16x16x32_fp8_fp8 v[96:99], a[78:79], a[6:7], v[96:99]// 00000000B45C: D3F30060 1D820D4E
	v_mfma_f32_16x16x32_fp8_fp8 v[108:111], a[80:81], a[0:1], v[108:111]// 00000000B464: D3F3006C 1DB20150
	buffer_load_dwordx4 a[192:195], v51, s[24:27], 0 offen     // 00000000B46C: E05C1000 8086C033
	v_mfma_f32_16x16x32_fp8_fp8 v[108:111], a[82:83], a[2:3], v[108:111]// 00000000B474: D3F3006C 1DB20552
	v_mfma_f32_16x16x32_fp8_fp8 v[108:111], a[84:85], a[4:5], v[108:111]// 00000000B47C: D3F3006C 1DB20954
	v_mfma_f32_16x16x32_fp8_fp8 v[108:111], a[86:87], a[6:7], v[108:111]// 00000000B484: D3F3006C 1DB20D56
	v_mfma_f32_16x16x32_fp8_fp8 v[120:123], a[88:89], a[0:1], v[120:123]// 00000000B48C: D3F30078 1DE20158
	buffer_load_dwordx4 a[196:199], v51, s[24:27], 0 offen offset:1024// 00000000B494: E05C1400 8086C433
	v_mfma_f32_16x16x32_fp8_fp8 v[120:123], a[90:91], a[2:3], v[120:123]// 00000000B49C: D3F30078 1DE2055A
	v_mfma_f32_16x16x32_fp8_fp8 v[120:123], a[92:93], a[4:5], v[120:123]// 00000000B4A4: D3F30078 1DE2095C
	v_mfma_f32_16x16x32_fp8_fp8 v[120:123], a[94:95], a[6:7], v[120:123]// 00000000B4AC: D3F30078 1DE20D5E
	v_mfma_f32_16x16x32_fp8_fp8 v[132:135], a[96:97], a[0:1], v[132:135]// 00000000B4B4: D3F30084 1E120160
	buffer_load_dwordx4 a[200:203], v52, s[24:27], 0 offen     // 00000000B4BC: E05C1000 8086C834
	v_mfma_f32_16x16x32_fp8_fp8 v[132:135], a[98:99], a[2:3], v[132:135]// 00000000B4C4: D3F30084 1E120562
	v_mfma_f32_16x16x32_fp8_fp8 v[132:135], a[100:101], a[4:5], v[132:135]// 00000000B4CC: D3F30084 1E120964
	v_mfma_f32_16x16x32_fp8_fp8 v[132:135], a[102:103], a[6:7], v[132:135]// 00000000B4D4: D3F30084 1E120D66
	v_mfma_f32_16x16x32_fp8_fp8 v[144:147], a[104:105], a[0:1], v[144:147]// 00000000B4DC: D3F30090 1E420168
	buffer_load_dwordx4 a[204:207], v52, s[24:27], 0 offen offset:1024// 00000000B4E4: E05C1400 8086CC34
	v_mfma_f32_16x16x32_fp8_fp8 v[144:147], a[106:107], a[2:3], v[144:147]// 00000000B4EC: D3F30090 1E42056A
	v_mfma_f32_16x16x32_fp8_fp8 v[144:147], a[108:109], a[4:5], v[144:147]// 00000000B4F4: D3F30090 1E42096C
	v_mfma_f32_16x16x32_fp8_fp8 v[144:147], a[110:111], a[6:7], v[144:147]// 00000000B4FC: D3F30090 1E420D6E
	v_mfma_f32_16x16x32_fp8_fp8 v[64:67], a[48:49], a[8:9], v[64:67]// 00000000B504: D3F30040 1D021130
	buffer_load_dwordx4 a[208:211], v53, s[24:27], 0 offen     // 00000000B50C: E05C1000 8086D035
	v_mfma_f32_16x16x32_fp8_fp8 v[64:67], a[50:51], a[10:11], v[64:67]// 00000000B514: D3F30040 1D021532
	v_mfma_f32_16x16x32_fp8_fp8 v[64:67], a[52:53], a[12:13], v[64:67]// 00000000B51C: D3F30040 1D021934
	v_mfma_f32_16x16x32_fp8_fp8 v[64:67], a[54:55], a[14:15], v[64:67]// 00000000B524: D3F30040 1D021D36
	v_mfma_f32_16x16x32_fp8_fp8 v[76:79], a[56:57], a[8:9], v[76:79]// 00000000B52C: D3F3004C 1D321138
	buffer_load_dwordx4 a[212:215], v53, s[24:27], 0 offen offset:1024// 00000000B534: E05C1400 8086D435
	v_mfma_f32_16x16x32_fp8_fp8 v[76:79], a[58:59], a[10:11], v[76:79]// 00000000B53C: D3F3004C 1D32153A
	v_mfma_f32_16x16x32_fp8_fp8 v[76:79], a[60:61], a[12:13], v[76:79]// 00000000B544: D3F3004C 1D32193C
	v_mfma_f32_16x16x32_fp8_fp8 v[76:79], a[62:63], a[14:15], v[76:79]// 00000000B54C: D3F3004C 1D321D3E
	v_mfma_f32_16x16x32_fp8_fp8 v[88:91], a[64:65], a[8:9], v[88:91]// 00000000B554: D3F30058 1D621140
	buffer_load_dwordx4 a[216:219], v54, s[24:27], 0 offen     // 00000000B55C: E05C1000 8086D836
	v_mfma_f32_16x16x32_fp8_fp8 v[88:91], a[66:67], a[10:11], v[88:91]// 00000000B564: D3F30058 1D621542
	v_mfma_f32_16x16x32_fp8_fp8 v[88:91], a[68:69], a[12:13], v[88:91]// 00000000B56C: D3F30058 1D621944
	v_mfma_f32_16x16x32_fp8_fp8 v[88:91], a[70:71], a[14:15], v[88:91]// 00000000B574: D3F30058 1D621D46
	v_mfma_f32_16x16x32_fp8_fp8 v[100:103], a[72:73], a[8:9], v[100:103]// 00000000B57C: D3F30064 1D921148
	buffer_load_dwordx4 a[220:223], v54, s[24:27], 0 offen offset:1024// 00000000B584: E05C1400 8086DC36
	v_mfma_f32_16x16x32_fp8_fp8 v[100:103], a[74:75], a[10:11], v[100:103]// 00000000B58C: D3F30064 1D92154A
	v_mfma_f32_16x16x32_fp8_fp8 v[100:103], a[76:77], a[12:13], v[100:103]// 00000000B594: D3F30064 1D92194C
	v_mfma_f32_16x16x32_fp8_fp8 v[100:103], a[78:79], a[14:15], v[100:103]// 00000000B59C: D3F30064 1D921D4E
	v_mfma_f32_16x16x32_fp8_fp8 v[112:115], a[80:81], a[8:9], v[112:115]// 00000000B5A4: D3F30070 1DC21150
	buffer_load_dwordx4 a[224:227], v55, s[24:27], 0 offen     // 00000000B5AC: E05C1000 8086E037
	v_mfma_f32_16x16x32_fp8_fp8 v[112:115], a[82:83], a[10:11], v[112:115]// 00000000B5B4: D3F30070 1DC21552
	v_mfma_f32_16x16x32_fp8_fp8 v[112:115], a[84:85], a[12:13], v[112:115]// 00000000B5BC: D3F30070 1DC21954
	v_mfma_f32_16x16x32_fp8_fp8 v[112:115], a[86:87], a[14:15], v[112:115]// 00000000B5C4: D3F30070 1DC21D56
	v_mfma_f32_16x16x32_fp8_fp8 v[124:127], a[88:89], a[8:9], v[124:127]// 00000000B5CC: D3F3007C 1DF21158
	buffer_load_dwordx4 a[228:231], v55, s[24:27], 0 offen offset:1024// 00000000B5D4: E05C1400 8086E437
	v_mfma_f32_16x16x32_fp8_fp8 v[124:127], a[90:91], a[10:11], v[124:127]// 00000000B5DC: D3F3007C 1DF2155A
	v_mfma_f32_16x16x32_fp8_fp8 v[124:127], a[92:93], a[12:13], v[124:127]// 00000000B5E4: D3F3007C 1DF2195C
	v_mfma_f32_16x16x32_fp8_fp8 v[124:127], a[94:95], a[14:15], v[124:127]// 00000000B5EC: D3F3007C 1DF21D5E
	v_mfma_f32_16x16x32_fp8_fp8 v[136:139], a[96:97], a[8:9], v[136:139]// 00000000B5F4: D3F30088 1E221160
	buffer_load_dwordx4 a[232:235], v56, s[24:27], 0 offen     // 00000000B5FC: E05C1000 8086E838
	v_mfma_f32_16x16x32_fp8_fp8 v[136:139], a[98:99], a[10:11], v[136:139]// 00000000B604: D3F30088 1E221562
	v_mfma_f32_16x16x32_fp8_fp8 v[136:139], a[100:101], a[12:13], v[136:139]// 00000000B60C: D3F30088 1E221964
	v_mfma_f32_16x16x32_fp8_fp8 v[136:139], a[102:103], a[14:15], v[136:139]// 00000000B614: D3F30088 1E221D66
	v_mfma_f32_16x16x32_fp8_fp8 v[148:151], a[104:105], a[8:9], v[148:151]// 00000000B61C: D3F30094 1E521168
	buffer_load_dwordx4 a[236:239], v56, s[24:27], 0 offen offset:1024// 00000000B624: E05C1400 8086EC38
	buffer_load_dword v43, s[20:23], 0 offen lds               // 00000000B62C: E0511000 8005002B
	s_add_u32 m0, 0x100, s50                                   // 00000000B634: 807C32FF 00000100
	v_mfma_f32_16x16x32_fp8_fp8 v[148:151], a[106:107], a[10:11], v[148:151]// 00000000B63C: D3F30094 1E52156A
	v_mfma_f32_16x16x32_fp8_fp8 v[148:151], a[108:109], a[12:13], v[148:151]// 00000000B644: D3F30094 1E52196C
	buffer_load_dword v44, s[20:23], 0 offen lds               // 00000000B64C: E0511000 8005002C
	s_add_u32 m0, 0x200, s50                                   // 00000000B654: 807C32FF 00000200
	v_mfma_f32_16x16x32_fp8_fp8 v[148:151], a[110:111], a[14:15], v[148:151]// 00000000B65C: D3F30094 1E521D6E
	v_mfma_f32_16x16x32_fp8_fp8 v[68:71], a[48:49], a[16:17], v[68:71]// 00000000B664: D3F30044 1D122130
	buffer_load_dword v45, s[20:23], 0 offen lds               // 00000000B66C: E0511000 8005002D
	s_add_u32 m0, 0x300, s50                                   // 00000000B674: 807C32FF 00000300
	v_mfma_f32_16x16x32_fp8_fp8 v[68:71], a[50:51], a[18:19], v[68:71]// 00000000B67C: D3F30044 1D122532
	v_mfma_f32_16x16x32_fp8_fp8 v[68:71], a[52:53], a[20:21], v[68:71]// 00000000B684: D3F30044 1D122934
	buffer_load_dword v46, s[20:23], 0 offen lds               // 00000000B68C: E0511000 8005002E
	s_add_u32 m0, 0x400, s50                                   // 00000000B694: 807C32FF 00000400
	v_mfma_f32_16x16x32_fp8_fp8 v[68:71], a[54:55], a[22:23], v[68:71]// 00000000B69C: D3F30044 1D122D36
	v_mfma_f32_16x16x32_fp8_fp8 v[80:83], a[56:57], a[16:17], v[80:83]// 00000000B6A4: D3F30050 1D422138
	buffer_load_dword v47, s[20:23], 0 offen lds               // 00000000B6AC: E0511000 8005002F
	s_add_u32 m0, 0x500, s50                                   // 00000000B6B4: 807C32FF 00000500
	v_mfma_f32_16x16x32_fp8_fp8 v[80:83], a[58:59], a[18:19], v[80:83]// 00000000B6BC: D3F30050 1D42253A
	v_mfma_f32_16x16x32_fp8_fp8 v[80:83], a[60:61], a[20:21], v[80:83]// 00000000B6C4: D3F30050 1D42293C
	buffer_load_dword v48, s[20:23], 0 offen lds               // 00000000B6CC: E0511000 80050030
	s_add_u32 m0, 0, s48                                       // 00000000B6D4: 807C3080
	v_mfma_f32_16x16x32_fp8_fp8 v[80:83], a[62:63], a[22:23], v[80:83]// 00000000B6D8: D3F30050 1D422D3E
	v_mfma_f32_16x16x32_fp8_fp8 v[92:95], a[64:65], a[16:17], v[92:95]// 00000000B6E0: D3F3005C 1D722140
	v_mfma_f32_16x16x32_fp8_fp8 v[92:95], a[66:67], a[18:19], v[92:95]// 00000000B6E8: D3F3005C 1D722542
	v_mfma_f32_16x16x32_fp8_fp8 v[92:95], a[68:69], a[20:21], v[92:95]// 00000000B6F0: D3F3005C 1D722944
	v_mfma_f32_16x16x32_fp8_fp8 v[92:95], a[70:71], a[22:23], v[92:95]// 00000000B6F8: D3F3005C 1D722D46
	v_mfma_f32_16x16x32_fp8_fp8 v[104:107], a[72:73], a[16:17], v[104:107]// 00000000B700: D3F30068 1DA22148
	v_mfma_f32_16x16x32_fp8_fp8 v[104:107], a[74:75], a[18:19], v[104:107]// 00000000B708: D3F30068 1DA2254A
	v_mfma_f32_16x16x32_fp8_fp8 v[104:107], a[76:77], a[20:21], v[104:107]// 00000000B710: D3F30068 1DA2294C
	v_mfma_f32_16x16x32_fp8_fp8 v[104:107], a[78:79], a[22:23], v[104:107]// 00000000B718: D3F30068 1DA22D4E
	v_mfma_f32_16x16x32_fp8_fp8 v[116:119], a[80:81], a[16:17], v[116:119]// 00000000B720: D3F30074 1DD22150
	v_mfma_f32_16x16x32_fp8_fp8 v[116:119], a[82:83], a[18:19], v[116:119]// 00000000B728: D3F30074 1DD22552
	v_mfma_f32_16x16x32_fp8_fp8 v[116:119], a[84:85], a[20:21], v[116:119]// 00000000B730: D3F30074 1DD22954
	v_mfma_f32_16x16x32_fp8_fp8 v[116:119], a[86:87], a[22:23], v[116:119]// 00000000B738: D3F30074 1DD22D56
	v_mfma_f32_16x16x32_fp8_fp8 v[128:131], a[88:89], a[16:17], v[128:131]// 00000000B740: D3F30080 1E022158
	v_mfma_f32_16x16x32_fp8_fp8 v[128:131], a[90:91], a[18:19], v[128:131]// 00000000B748: D3F30080 1E02255A
	v_mfma_f32_16x16x32_fp8_fp8 v[128:131], a[92:93], a[20:21], v[128:131]// 00000000B750: D3F30080 1E02295C
	v_mfma_f32_16x16x32_fp8_fp8 v[128:131], a[94:95], a[22:23], v[128:131]// 00000000B758: D3F30080 1E022D5E
	v_mfma_f32_16x16x32_fp8_fp8 v[140:143], a[96:97], a[16:17], v[140:143]// 00000000B760: D3F3008C 1E322160
	v_mfma_f32_16x16x32_fp8_fp8 v[140:143], a[98:99], a[18:19], v[140:143]// 00000000B768: D3F3008C 1E322562
	v_mfma_f32_16x16x32_fp8_fp8 v[140:143], a[100:101], a[20:21], v[140:143]// 00000000B770: D3F3008C 1E322964
	v_mfma_f32_16x16x32_fp8_fp8 v[140:143], a[102:103], a[22:23], v[140:143]// 00000000B778: D3F3008C 1E322D66
	v_mfma_f32_16x16x32_fp8_fp8 v[152:155], a[104:105], a[16:17], v[152:155]// 00000000B780: D3F30098 1E622168
	v_mfma_f32_16x16x32_fp8_fp8 v[152:155], a[106:107], a[18:19], v[152:155]// 00000000B788: D3F30098 1E62256A
	v_mfma_f32_16x16x32_fp8_fp8 v[152:155], a[108:109], a[20:21], v[152:155]// 00000000B790: D3F30098 1E62296C
	v_mfma_f32_16x16x32_fp8_fp8 v[152:155], a[110:111], a[22:23], v[152:155]// 00000000B798: D3F30098 1E622D6E
	s_waitcnt vmcnt(22)                                        // 00000000B7A0: BF8C4F76
	s_barrier                                                  // 00000000B7A4: BF8A0000
	v_mfma_f32_16x16x32_fp8_fp8 v[156:159], a[112:113], a[0:1], v[156:159]// 00000000B7A8: D3F3009C 1E720170
	buffer_load_dwordx4 a[48:51], v49, s[84:87], 0 offen       // 00000000B7B0: E05C1000 80953031
	v_mfma_f32_16x16x32_fp8_fp8 v[156:159], a[114:115], a[2:3], v[156:159]// 00000000B7B8: D3F3009C 1E720572
	v_mfma_f32_16x16x32_fp8_fp8 v[156:159], a[116:117], a[4:5], v[156:159]// 00000000B7C0: D3F3009C 1E720974
	ds_read_b128 a[24:27], v2 offset:6272                      // 00000000B7C8: DBFE1880 18000002
	ds_read_b128 a[28:31], v2 offset:6336                      // 00000000B7D0: DBFE18C0 1C000002
	v_mfma_f32_16x16x32_fp8_fp8 v[156:159], a[118:119], a[6:7], v[156:159]// 00000000B7D8: D3F3009C 1E720D76
	v_mfma_f32_16x16x32_fp8_fp8 v[168:171], a[120:121], a[0:1], v[168:171]// 00000000B7E0: D3F300A8 1EA20178
	buffer_load_dwordx4 a[52:55], v49, s[84:87], 0 offen offset:1024// 00000000B7E8: E05C1400 80953431
	v_mfma_f32_16x16x32_fp8_fp8 v[168:171], a[122:123], a[2:3], v[168:171]// 00000000B7F0: D3F300A8 1EA2057A
	v_mfma_f32_16x16x32_fp8_fp8 v[168:171], a[124:125], a[4:5], v[168:171]// 00000000B7F8: D3F300A8 1EA2097C
	ds_read_b128 a[32:35], v2 offset:6784                      // 00000000B800: DBFE1A80 20000002
	ds_read_b128 a[36:39], v2 offset:6848                      // 00000000B808: DBFE1AC0 24000002
	v_mfma_f32_16x16x32_fp8_fp8 v[168:171], a[126:127], a[6:7], v[168:171]// 00000000B810: D3F300A8 1EA20D7E
	v_mfma_f32_16x16x32_fp8_fp8 v[180:183], a[128:129], a[0:1], v[180:183]// 00000000B818: D3F300B4 1ED20180
	buffer_load_dwordx4 a[56:59], v50, s[84:87], 0 offen       // 00000000B820: E05C1000 80953832
	v_mfma_f32_16x16x32_fp8_fp8 v[180:183], a[130:131], a[2:3], v[180:183]// 00000000B828: D3F300B4 1ED20582
	v_mfma_f32_16x16x32_fp8_fp8 v[180:183], a[132:133], a[4:5], v[180:183]// 00000000B830: D3F300B4 1ED20984
	ds_read_b128 a[40:43], v2 offset:7296                      // 00000000B838: DBFE1C80 28000002
	ds_read_b128 a[44:47], v2 offset:7360                      // 00000000B840: DBFE1CC0 2C000002
	v_mfma_f32_16x16x32_fp8_fp8 v[180:183], a[134:135], a[6:7], v[180:183]// 00000000B848: D3F300B4 1ED20D86
	v_mfma_f32_16x16x32_fp8_fp8 v[192:195], a[136:137], a[0:1], v[192:195]// 00000000B850: D3F300C0 1F020188
	buffer_load_dwordx4 a[60:63], v50, s[84:87], 0 offen offset:1024// 00000000B858: E05C1400 80953C32
	v_mfma_f32_16x16x32_fp8_fp8 v[192:195], a[138:139], a[2:3], v[192:195]// 00000000B860: D3F300C0 1F02058A
	v_mfma_f32_16x16x32_fp8_fp8 v[192:195], a[140:141], a[4:5], v[192:195]// 00000000B868: D3F300C0 1F02098C
	v_mfma_f32_16x16x32_fp8_fp8 v[192:195], a[142:143], a[6:7], v[192:195]// 00000000B870: D3F300C0 1F020D8E
	v_mfma_f32_16x16x32_fp8_fp8 v[204:207], a[144:145], a[0:1], v[204:207]// 00000000B878: D3F300CC 1F320190
	buffer_load_dwordx4 a[64:67], v51, s[84:87], 0 offen       // 00000000B880: E05C1000 80954033
	v_mfma_f32_16x16x32_fp8_fp8 v[204:207], a[146:147], a[2:3], v[204:207]// 00000000B888: D3F300CC 1F320592
	v_mfma_f32_16x16x32_fp8_fp8 v[204:207], a[148:149], a[4:5], v[204:207]// 00000000B890: D3F300CC 1F320994
	v_mfma_f32_16x16x32_fp8_fp8 v[204:207], a[150:151], a[6:7], v[204:207]// 00000000B898: D3F300CC 1F320D96
	v_mfma_f32_16x16x32_fp8_fp8 v[216:219], a[152:153], a[0:1], v[216:219]// 00000000B8A0: D3F300D8 1F620198
	buffer_load_dwordx4 a[68:71], v51, s[84:87], 0 offen offset:1024// 00000000B8A8: E05C1400 80954433
	v_mfma_f32_16x16x32_fp8_fp8 v[216:219], a[154:155], a[2:3], v[216:219]// 00000000B8B0: D3F300D8 1F62059A
	v_mfma_f32_16x16x32_fp8_fp8 v[216:219], a[156:157], a[4:5], v[216:219]// 00000000B8B8: D3F300D8 1F62099C
	v_mfma_f32_16x16x32_fp8_fp8 v[216:219], a[158:159], a[6:7], v[216:219]// 00000000B8C0: D3F300D8 1F620D9E
	v_mfma_f32_16x16x32_fp8_fp8 v[228:231], a[160:161], a[0:1], v[228:231]// 00000000B8C8: D3F300E4 1F9201A0
	buffer_load_dwordx4 a[72:75], v52, s[84:87], 0 offen       // 00000000B8D0: E05C1000 80954834
	v_mfma_f32_16x16x32_fp8_fp8 v[228:231], a[162:163], a[2:3], v[228:231]// 00000000B8D8: D3F300E4 1F9205A2
	v_mfma_f32_16x16x32_fp8_fp8 v[228:231], a[164:165], a[4:5], v[228:231]// 00000000B8E0: D3F300E4 1F9209A4
	v_mfma_f32_16x16x32_fp8_fp8 v[228:231], a[166:167], a[6:7], v[228:231]// 00000000B8E8: D3F300E4 1F920DA6
	v_mfma_f32_16x16x32_fp8_fp8 v[240:243], a[168:169], a[0:1], v[240:243]// 00000000B8F0: D3F300F0 1FC201A8
	buffer_load_dwordx4 a[76:79], v52, s[84:87], 0 offen offset:1024// 00000000B8F8: E05C1400 80954C34
	v_mfma_f32_16x16x32_fp8_fp8 v[240:243], a[170:171], a[2:3], v[240:243]// 00000000B900: D3F300F0 1FC205AA
	v_mfma_f32_16x16x32_fp8_fp8 v[240:243], a[172:173], a[4:5], v[240:243]// 00000000B908: D3F300F0 1FC209AC
	v_mfma_f32_16x16x32_fp8_fp8 v[240:243], a[174:175], a[6:7], v[240:243]// 00000000B910: D3F300F0 1FC20DAE
	v_mfma_f32_16x16x32_fp8_fp8 v[160:163], a[112:113], a[8:9], v[160:163]// 00000000B918: D3F300A0 1E821170
	buffer_load_dwordx4 a[80:83], v53, s[84:87], 0 offen       // 00000000B920: E05C1000 80955035
	v_mfma_f32_16x16x32_fp8_fp8 v[160:163], a[114:115], a[10:11], v[160:163]// 00000000B928: D3F300A0 1E821572
	v_mfma_f32_16x16x32_fp8_fp8 v[160:163], a[116:117], a[12:13], v[160:163]// 00000000B930: D3F300A0 1E821974
	v_mfma_f32_16x16x32_fp8_fp8 v[160:163], a[118:119], a[14:15], v[160:163]// 00000000B938: D3F300A0 1E821D76
	v_mfma_f32_16x16x32_fp8_fp8 v[172:175], a[120:121], a[8:9], v[172:175]// 00000000B940: D3F300AC 1EB21178
	buffer_load_dwordx4 a[84:87], v53, s[84:87], 0 offen offset:1024// 00000000B948: E05C1400 80955435
	v_mfma_f32_16x16x32_fp8_fp8 v[172:175], a[122:123], a[10:11], v[172:175]// 00000000B950: D3F300AC 1EB2157A
	v_mfma_f32_16x16x32_fp8_fp8 v[172:175], a[124:125], a[12:13], v[172:175]// 00000000B958: D3F300AC 1EB2197C
	v_mfma_f32_16x16x32_fp8_fp8 v[172:175], a[126:127], a[14:15], v[172:175]// 00000000B960: D3F300AC 1EB21D7E
	v_mfma_f32_16x16x32_fp8_fp8 v[184:187], a[128:129], a[8:9], v[184:187]// 00000000B968: D3F300B8 1EE21180
	buffer_load_dwordx4 a[88:91], v54, s[84:87], 0 offen       // 00000000B970: E05C1000 80955836
	v_mfma_f32_16x16x32_fp8_fp8 v[184:187], a[130:131], a[10:11], v[184:187]// 00000000B978: D3F300B8 1EE21582
	v_mfma_f32_16x16x32_fp8_fp8 v[184:187], a[132:133], a[12:13], v[184:187]// 00000000B980: D3F300B8 1EE21984
	v_mfma_f32_16x16x32_fp8_fp8 v[184:187], a[134:135], a[14:15], v[184:187]// 00000000B988: D3F300B8 1EE21D86
	v_mfma_f32_16x16x32_fp8_fp8 v[196:199], a[136:137], a[8:9], v[196:199]// 00000000B990: D3F300C4 1F121188
	buffer_load_dwordx4 a[92:95], v54, s[84:87], 0 offen offset:1024// 00000000B998: E05C1400 80955C36
	v_mfma_f32_16x16x32_fp8_fp8 v[196:199], a[138:139], a[10:11], v[196:199]// 00000000B9A0: D3F300C4 1F12158A
	v_mfma_f32_16x16x32_fp8_fp8 v[196:199], a[140:141], a[12:13], v[196:199]// 00000000B9A8: D3F300C4 1F12198C
	v_mfma_f32_16x16x32_fp8_fp8 v[196:199], a[142:143], a[14:15], v[196:199]// 00000000B9B0: D3F300C4 1F121D8E
	v_mfma_f32_16x16x32_fp8_fp8 v[208:211], a[144:145], a[8:9], v[208:211]// 00000000B9B8: D3F300D0 1F421190
	buffer_load_dwordx4 a[96:99], v55, s[84:87], 0 offen       // 00000000B9C0: E05C1000 80956037
	v_mfma_f32_16x16x32_fp8_fp8 v[208:211], a[146:147], a[10:11], v[208:211]// 00000000B9C8: D3F300D0 1F421592
	v_mfma_f32_16x16x32_fp8_fp8 v[208:211], a[148:149], a[12:13], v[208:211]// 00000000B9D0: D3F300D0 1F421994
	v_mfma_f32_16x16x32_fp8_fp8 v[208:211], a[150:151], a[14:15], v[208:211]// 00000000B9D8: D3F300D0 1F421D96
	v_mfma_f32_16x16x32_fp8_fp8 v[220:223], a[152:153], a[8:9], v[220:223]// 00000000B9E0: D3F300DC 1F721198
	buffer_load_dwordx4 a[100:103], v55, s[84:87], 0 offen offset:1024// 00000000B9E8: E05C1400 80956437
	v_mfma_f32_16x16x32_fp8_fp8 v[220:223], a[154:155], a[10:11], v[220:223]// 00000000B9F0: D3F300DC 1F72159A
	v_mfma_f32_16x16x32_fp8_fp8 v[220:223], a[156:157], a[12:13], v[220:223]// 00000000B9F8: D3F300DC 1F72199C
	v_mfma_f32_16x16x32_fp8_fp8 v[220:223], a[158:159], a[14:15], v[220:223]// 00000000BA00: D3F300DC 1F721D9E
	v_mfma_f32_16x16x32_fp8_fp8 v[232:235], a[160:161], a[8:9], v[232:235]// 00000000BA08: D3F300E8 1FA211A0
	buffer_load_dwordx4 a[104:107], v56, s[84:87], 0 offen     // 00000000BA10: E05C1000 80956838
	v_mfma_f32_16x16x32_fp8_fp8 v[232:235], a[162:163], a[10:11], v[232:235]// 00000000BA18: D3F300E8 1FA215A2
	v_mfma_f32_16x16x32_fp8_fp8 v[232:235], a[164:165], a[12:13], v[232:235]// 00000000BA20: D3F300E8 1FA219A4
	v_mfma_f32_16x16x32_fp8_fp8 v[232:235], a[166:167], a[14:15], v[232:235]// 00000000BA28: D3F300E8 1FA21DA6
	v_mfma_f32_16x16x32_fp8_fp8 v[244:247], a[168:169], a[8:9], v[244:247]// 00000000BA30: D3F300F4 1FD211A8
	buffer_load_dwordx4 a[108:111], v56, s[84:87], 0 offen offset:1024// 00000000BA38: E05C1400 80956C38
	v_mfma_f32_16x16x32_fp8_fp8 v[244:247], a[170:171], a[10:11], v[244:247]// 00000000BA40: D3F300F4 1FD215AA
	v_mfma_f32_16x16x32_fp8_fp8 v[244:247], a[172:173], a[12:13], v[244:247]// 00000000BA48: D3F300F4 1FD219AC
	v_mfma_f32_16x16x32_fp8_fp8 v[244:247], a[174:175], a[14:15], v[244:247]// 00000000BA50: D3F300F4 1FD21DAE
	v_mfma_f32_16x16x32_fp8_fp8 v[164:167], a[112:113], a[16:17], v[164:167]// 00000000BA58: D3F300A4 1E922170
	v_mfma_f32_16x16x32_fp8_fp8 v[164:167], a[114:115], a[18:19], v[164:167]// 00000000BA60: D3F300A4 1E922572
	v_mfma_f32_16x16x32_fp8_fp8 v[164:167], a[116:117], a[20:21], v[164:167]// 00000000BA68: D3F300A4 1E922974
	v_mfma_f32_16x16x32_fp8_fp8 v[164:167], a[118:119], a[22:23], v[164:167]// 00000000BA70: D3F300A4 1E922D76
	v_mfma_f32_16x16x32_fp8_fp8 v[176:179], a[120:121], a[16:17], v[176:179]// 00000000BA78: D3F300B0 1EC22178
	v_mfma_f32_16x16x32_fp8_fp8 v[176:179], a[122:123], a[18:19], v[176:179]// 00000000BA80: D3F300B0 1EC2257A
	v_mfma_f32_16x16x32_fp8_fp8 v[176:179], a[124:125], a[20:21], v[176:179]// 00000000BA88: D3F300B0 1EC2297C
	v_mfma_f32_16x16x32_fp8_fp8 v[176:179], a[126:127], a[22:23], v[176:179]// 00000000BA90: D3F300B0 1EC22D7E
	v_mfma_f32_16x16x32_fp8_fp8 v[188:191], a[128:129], a[16:17], v[188:191]// 00000000BA98: D3F300BC 1EF22180
	v_mfma_f32_16x16x32_fp8_fp8 v[188:191], a[130:131], a[18:19], v[188:191]// 00000000BAA0: D3F300BC 1EF22582
	v_mfma_f32_16x16x32_fp8_fp8 v[188:191], a[132:133], a[20:21], v[188:191]// 00000000BAA8: D3F300BC 1EF22984
	v_mfma_f32_16x16x32_fp8_fp8 v[188:191], a[134:135], a[22:23], v[188:191]// 00000000BAB0: D3F300BC 1EF22D86
	v_mfma_f32_16x16x32_fp8_fp8 v[200:203], a[136:137], a[16:17], v[200:203]// 00000000BAB8: D3F300C8 1F222188
	v_mfma_f32_16x16x32_fp8_fp8 v[200:203], a[138:139], a[18:19], v[200:203]// 00000000BAC0: D3F300C8 1F22258A
	v_mfma_f32_16x16x32_fp8_fp8 v[200:203], a[140:141], a[20:21], v[200:203]// 00000000BAC8: D3F300C8 1F22298C
	v_mfma_f32_16x16x32_fp8_fp8 v[200:203], a[142:143], a[22:23], v[200:203]// 00000000BAD0: D3F300C8 1F222D8E
	v_mfma_f32_16x16x32_fp8_fp8 v[212:215], a[144:145], a[16:17], v[212:215]// 00000000BAD8: D3F300D4 1F522190
	v_mfma_f32_16x16x32_fp8_fp8 v[212:215], a[146:147], a[18:19], v[212:215]// 00000000BAE0: D3F300D4 1F522592
	v_mfma_f32_16x16x32_fp8_fp8 v[212:215], a[148:149], a[20:21], v[212:215]// 00000000BAE8: D3F300D4 1F522994
	v_mfma_f32_16x16x32_fp8_fp8 v[212:215], a[150:151], a[22:23], v[212:215]// 00000000BAF0: D3F300D4 1F522D96
	v_mfma_f32_16x16x32_fp8_fp8 v[224:227], a[152:153], a[16:17], v[224:227]// 00000000BAF8: D3F300E0 1F822198
	v_mfma_f32_16x16x32_fp8_fp8 v[224:227], a[154:155], a[18:19], v[224:227]// 00000000BB00: D3F300E0 1F82259A
	v_mfma_f32_16x16x32_fp8_fp8 v[224:227], a[156:157], a[20:21], v[224:227]// 00000000BB08: D3F300E0 1F82299C
	v_mfma_f32_16x16x32_fp8_fp8 v[224:227], a[158:159], a[22:23], v[224:227]// 00000000BB10: D3F300E0 1F822D9E
	v_mfma_f32_16x16x32_fp8_fp8 v[236:239], a[160:161], a[16:17], v[236:239]// 00000000BB18: D3F300EC 1FB221A0
	s_add_u32 s60, 0x180, s80                                  // 00000000BB20: 803C50FF 00000180
	s_cmp_lt_u32 s60, s81                                      // 00000000BB28: BF0A513C
	s_cselect_b32 s57, s57, 0                                  // 00000000BB2C: 85398039
	v_mfma_f32_16x16x32_fp8_fp8 v[236:239], a[162:163], a[18:19], v[236:239]// 00000000BB30: D3F300EC 1FB225A2
	s_add_u32 s60, 0x100, s80                                  // 00000000BB38: 803C50FF 00000100
	s_cmp_lt_u32 s60, s81                                      // 00000000BB40: BF0A513C
	s_cselect_b32 s58, s58, 0                                  // 00000000BB44: 853A803A
	v_mfma_f32_16x16x32_fp8_fp8 v[236:239], a[164:165], a[20:21], v[236:239]// 00000000BB48: D3F300EC 1FB229A4
	s_add_u32 s60, 0x100, s80                                  // 00000000BB50: 803C50FF 00000100
	s_cmp_lt_u32 s60, s81                                      // 00000000BB58: BF0A513C
	s_cselect_b32 s83, s83, 0                                  // 00000000BB5C: 85538053
	v_mfma_f32_16x16x32_fp8_fp8 v[236:239], a[166:167], a[22:23], v[236:239]// 00000000BB60: D3F300EC 1FB22DA6
	s_add_u32 s24, s58, s24                                    // 00000000BB68: 8018183A
	s_addc_u32 s25, 0, s25                                     // 00000000BB6C: 82191980
	v_mfma_f32_16x16x32_fp8_fp8 v[248:251], a[168:169], a[16:17], v[248:251]// 00000000BB70: D3F300F8 1FE221A8
	s_add_u32 s20, s57, s20                                    // 00000000BB78: 80141439
	s_addc_u32 s21, 0, s21                                     // 00000000BB7C: 82151580
	v_mfma_f32_16x16x32_fp8_fp8 v[248:251], a[170:171], a[18:19], v[248:251]// 00000000BB80: D3F300F8 1FE225AA
	s_add_u32 s84, s83, s84                                    // 00000000BB88: 80545453
	s_addc_u32 s85, 0, s85                                     // 00000000BB8C: 82555580
	v_mfma_f32_16x16x32_fp8_fp8 v[248:251], a[172:173], a[20:21], v[248:251]// 00000000BB90: D3F300F8 1FE229AC
	v_mfma_f32_16x16x32_fp8_fp8 v[248:251], a[174:175], a[22:23], v[248:251]// 00000000BB98: D3F300F8 1FE22DAE
	s_addk_i32 s80, 0x80                                       // 00000000BBA0: B7500080
	s_cmp_lt_i32 s80, s81                                      // 00000000BBA4: BF045150
	s_cbranch_scc0 label_2E56                                  // 00000000BBA8: BF8409E8
	s_waitcnt vmcnt(22) lgkmcnt(0)                             // 00000000BBAC: BF8C4076
	v_mfma_f32_16x16x32_fp8_fp8 v[60:63], a[176:177], a[24:25], v[60:63]// 00000000BBB0: D3F3003C 1CF231B0
	buffer_load_dwordx4 a[112:115], v49, s[24:27], 0 offen     // 00000000BBB8: E05C1000 80867031
	v_mfma_f32_16x16x32_fp8_fp8 v[60:63], a[178:179], a[26:27], v[60:63]// 00000000BBC0: D3F3003C 1CF235B2
	v_mfma_f32_16x16x32_fp8_fp8 v[60:63], a[180:181], a[28:29], v[60:63]// 00000000BBC8: D3F3003C 1CF239B4
	v_mfma_f32_16x16x32_fp8_fp8 v[60:63], a[182:183], a[30:31], v[60:63]// 00000000BBD0: D3F3003C 1CF23DB6
	v_mfma_f32_16x16x32_fp8_fp8 v[72:75], a[184:185], a[24:25], v[72:75]// 00000000BBD8: D3F30048 1D2231B8
	buffer_load_dwordx4 a[116:119], v49, s[24:27], 0 offen offset:1024// 00000000BBE0: E05C1400 80867431
	v_mfma_f32_16x16x32_fp8_fp8 v[72:75], a[186:187], a[26:27], v[72:75]// 00000000BBE8: D3F30048 1D2235BA
	v_mfma_f32_16x16x32_fp8_fp8 v[72:75], a[188:189], a[28:29], v[72:75]// 00000000BBF0: D3F30048 1D2239BC
	v_mfma_f32_16x16x32_fp8_fp8 v[72:75], a[190:191], a[30:31], v[72:75]// 00000000BBF8: D3F30048 1D223DBE
	v_mfma_f32_16x16x32_fp8_fp8 v[84:87], a[192:193], a[24:25], v[84:87]// 00000000BC00: D3F30054 1D5231C0
	buffer_load_dwordx4 a[120:123], v50, s[24:27], 0 offen     // 00000000BC08: E05C1000 80867832
	v_mfma_f32_16x16x32_fp8_fp8 v[84:87], a[194:195], a[26:27], v[84:87]// 00000000BC10: D3F30054 1D5235C2
	v_mfma_f32_16x16x32_fp8_fp8 v[84:87], a[196:197], a[28:29], v[84:87]// 00000000BC18: D3F30054 1D5239C4
	v_mfma_f32_16x16x32_fp8_fp8 v[84:87], a[198:199], a[30:31], v[84:87]// 00000000BC20: D3F30054 1D523DC6
	v_mfma_f32_16x16x32_fp8_fp8 v[96:99], a[200:201], a[24:25], v[96:99]// 00000000BC28: D3F30060 1D8231C8
	buffer_load_dwordx4 a[124:127], v50, s[24:27], 0 offen offset:1024// 00000000BC30: E05C1400 80867C32
	v_mfma_f32_16x16x32_fp8_fp8 v[96:99], a[202:203], a[26:27], v[96:99]// 00000000BC38: D3F30060 1D8235CA
	v_mfma_f32_16x16x32_fp8_fp8 v[96:99], a[204:205], a[28:29], v[96:99]// 00000000BC40: D3F30060 1D8239CC
	v_mfma_f32_16x16x32_fp8_fp8 v[96:99], a[206:207], a[30:31], v[96:99]// 00000000BC48: D3F30060 1D823DCE
	v_mfma_f32_16x16x32_fp8_fp8 v[108:111], a[208:209], a[24:25], v[108:111]// 00000000BC50: D3F3006C 1DB231D0
	buffer_load_dwordx4 a[128:131], v51, s[24:27], 0 offen     // 00000000BC58: E05C1000 80868033
	v_mfma_f32_16x16x32_fp8_fp8 v[108:111], a[210:211], a[26:27], v[108:111]// 00000000BC60: D3F3006C 1DB235D2
	v_mfma_f32_16x16x32_fp8_fp8 v[108:111], a[212:213], a[28:29], v[108:111]// 00000000BC68: D3F3006C 1DB239D4
	v_mfma_f32_16x16x32_fp8_fp8 v[108:111], a[214:215], a[30:31], v[108:111]// 00000000BC70: D3F3006C 1DB23DD6
	v_mfma_f32_16x16x32_fp8_fp8 v[120:123], a[216:217], a[24:25], v[120:123]// 00000000BC78: D3F30078 1DE231D8
	buffer_load_dwordx4 a[132:135], v51, s[24:27], 0 offen offset:1024// 00000000BC80: E05C1400 80868433
	v_mfma_f32_16x16x32_fp8_fp8 v[120:123], a[218:219], a[26:27], v[120:123]// 00000000BC88: D3F30078 1DE235DA
	v_mfma_f32_16x16x32_fp8_fp8 v[120:123], a[220:221], a[28:29], v[120:123]// 00000000BC90: D3F30078 1DE239DC
	v_mfma_f32_16x16x32_fp8_fp8 v[120:123], a[222:223], a[30:31], v[120:123]// 00000000BC98: D3F30078 1DE23DDE
	v_mfma_f32_16x16x32_fp8_fp8 v[132:135], a[224:225], a[24:25], v[132:135]// 00000000BCA0: D3F30084 1E1231E0
	buffer_load_dwordx4 a[136:139], v52, s[24:27], 0 offen     // 00000000BCA8: E05C1000 80868834
	v_mfma_f32_16x16x32_fp8_fp8 v[132:135], a[226:227], a[26:27], v[132:135]// 00000000BCB0: D3F30084 1E1235E2
	v_mfma_f32_16x16x32_fp8_fp8 v[132:135], a[228:229], a[28:29], v[132:135]// 00000000BCB8: D3F30084 1E1239E4
	v_mfma_f32_16x16x32_fp8_fp8 v[132:135], a[230:231], a[30:31], v[132:135]// 00000000BCC0: D3F30084 1E123DE6
	v_mfma_f32_16x16x32_fp8_fp8 v[144:147], a[232:233], a[24:25], v[144:147]// 00000000BCC8: D3F30090 1E4231E8
	buffer_load_dwordx4 a[140:143], v52, s[24:27], 0 offen offset:1024// 00000000BCD0: E05C1400 80868C34
	v_mfma_f32_16x16x32_fp8_fp8 v[144:147], a[234:235], a[26:27], v[144:147]// 00000000BCD8: D3F30090 1E4235EA
	v_mfma_f32_16x16x32_fp8_fp8 v[144:147], a[236:237], a[28:29], v[144:147]// 00000000BCE0: D3F30090 1E4239EC
	v_mfma_f32_16x16x32_fp8_fp8 v[144:147], a[238:239], a[30:31], v[144:147]// 00000000BCE8: D3F30090 1E423DEE
	v_mfma_f32_16x16x32_fp8_fp8 v[64:67], a[176:177], a[32:33], v[64:67]// 00000000BCF0: D3F30040 1D0241B0
	buffer_load_dwordx4 a[144:147], v53, s[24:27], 0 offen     // 00000000BCF8: E05C1000 80869035
	v_mfma_f32_16x16x32_fp8_fp8 v[64:67], a[178:179], a[34:35], v[64:67]// 00000000BD00: D3F30040 1D0245B2
	v_mfma_f32_16x16x32_fp8_fp8 v[64:67], a[180:181], a[36:37], v[64:67]// 00000000BD08: D3F30040 1D0249B4
	v_mfma_f32_16x16x32_fp8_fp8 v[64:67], a[182:183], a[38:39], v[64:67]// 00000000BD10: D3F30040 1D024DB6
	v_mfma_f32_16x16x32_fp8_fp8 v[76:79], a[184:185], a[32:33], v[76:79]// 00000000BD18: D3F3004C 1D3241B8
	buffer_load_dwordx4 a[148:151], v53, s[24:27], 0 offen offset:1024// 00000000BD20: E05C1400 80869435
	v_mfma_f32_16x16x32_fp8_fp8 v[76:79], a[186:187], a[34:35], v[76:79]// 00000000BD28: D3F3004C 1D3245BA
	v_mfma_f32_16x16x32_fp8_fp8 v[76:79], a[188:189], a[36:37], v[76:79]// 00000000BD30: D3F3004C 1D3249BC
	v_mfma_f32_16x16x32_fp8_fp8 v[76:79], a[190:191], a[38:39], v[76:79]// 00000000BD38: D3F3004C 1D324DBE
	v_mfma_f32_16x16x32_fp8_fp8 v[88:91], a[192:193], a[32:33], v[88:91]// 00000000BD40: D3F30058 1D6241C0
	buffer_load_dwordx4 a[152:155], v54, s[24:27], 0 offen     // 00000000BD48: E05C1000 80869836
	v_mfma_f32_16x16x32_fp8_fp8 v[88:91], a[194:195], a[34:35], v[88:91]// 00000000BD50: D3F30058 1D6245C2
	v_mfma_f32_16x16x32_fp8_fp8 v[88:91], a[196:197], a[36:37], v[88:91]// 00000000BD58: D3F30058 1D6249C4
	v_mfma_f32_16x16x32_fp8_fp8 v[88:91], a[198:199], a[38:39], v[88:91]// 00000000BD60: D3F30058 1D624DC6
	v_mfma_f32_16x16x32_fp8_fp8 v[100:103], a[200:201], a[32:33], v[100:103]// 00000000BD68: D3F30064 1D9241C8
	buffer_load_dwordx4 a[156:159], v54, s[24:27], 0 offen offset:1024// 00000000BD70: E05C1400 80869C36
	v_mfma_f32_16x16x32_fp8_fp8 v[100:103], a[202:203], a[34:35], v[100:103]// 00000000BD78: D3F30064 1D9245CA
	v_mfma_f32_16x16x32_fp8_fp8 v[100:103], a[204:205], a[36:37], v[100:103]// 00000000BD80: D3F30064 1D9249CC
	v_mfma_f32_16x16x32_fp8_fp8 v[100:103], a[206:207], a[38:39], v[100:103]// 00000000BD88: D3F30064 1D924DCE
	v_mfma_f32_16x16x32_fp8_fp8 v[112:115], a[208:209], a[32:33], v[112:115]// 00000000BD90: D3F30070 1DC241D0
	buffer_load_dwordx4 a[160:163], v55, s[24:27], 0 offen     // 00000000BD98: E05C1000 8086A037
	v_mfma_f32_16x16x32_fp8_fp8 v[112:115], a[210:211], a[34:35], v[112:115]// 00000000BDA0: D3F30070 1DC245D2
	v_mfma_f32_16x16x32_fp8_fp8 v[112:115], a[212:213], a[36:37], v[112:115]// 00000000BDA8: D3F30070 1DC249D4
	v_mfma_f32_16x16x32_fp8_fp8 v[112:115], a[214:215], a[38:39], v[112:115]// 00000000BDB0: D3F30070 1DC24DD6
	v_mfma_f32_16x16x32_fp8_fp8 v[124:127], a[216:217], a[32:33], v[124:127]// 00000000BDB8: D3F3007C 1DF241D8
	buffer_load_dwordx4 a[164:167], v55, s[24:27], 0 offen offset:1024// 00000000BDC0: E05C1400 8086A437
	v_mfma_f32_16x16x32_fp8_fp8 v[124:127], a[218:219], a[34:35], v[124:127]// 00000000BDC8: D3F3007C 1DF245DA
	v_mfma_f32_16x16x32_fp8_fp8 v[124:127], a[220:221], a[36:37], v[124:127]// 00000000BDD0: D3F3007C 1DF249DC
	v_mfma_f32_16x16x32_fp8_fp8 v[124:127], a[222:223], a[38:39], v[124:127]// 00000000BDD8: D3F3007C 1DF24DDE
	v_mfma_f32_16x16x32_fp8_fp8 v[136:139], a[224:225], a[32:33], v[136:139]// 00000000BDE0: D3F30088 1E2241E0
	buffer_load_dwordx4 a[168:171], v56, s[24:27], 0 offen     // 00000000BDE8: E05C1000 8086A838
	v_mfma_f32_16x16x32_fp8_fp8 v[136:139], a[226:227], a[34:35], v[136:139]// 00000000BDF0: D3F30088 1E2245E2
	v_mfma_f32_16x16x32_fp8_fp8 v[136:139], a[228:229], a[36:37], v[136:139]// 00000000BDF8: D3F30088 1E2249E4
	v_mfma_f32_16x16x32_fp8_fp8 v[136:139], a[230:231], a[38:39], v[136:139]// 00000000BE00: D3F30088 1E224DE6
	v_mfma_f32_16x16x32_fp8_fp8 v[148:151], a[232:233], a[32:33], v[148:151]// 00000000BE08: D3F30094 1E5241E8
	buffer_load_dwordx4 a[172:175], v56, s[24:27], 0 offen offset:1024// 00000000BE10: E05C1400 8086AC38
	buffer_load_dword v43, s[20:23], 0 offen lds               // 00000000BE18: E0511000 8005002B
	s_add_u32 m0, 0x100, s48                                   // 00000000BE20: 807C30FF 00000100
	v_mfma_f32_16x16x32_fp8_fp8 v[148:151], a[234:235], a[34:35], v[148:151]// 00000000BE28: D3F30094 1E5245EA
	v_mfma_f32_16x16x32_fp8_fp8 v[148:151], a[236:237], a[36:37], v[148:151]// 00000000BE30: D3F30094 1E5249EC
	buffer_load_dword v44, s[20:23], 0 offen lds               // 00000000BE38: E0511000 8005002C
	s_add_u32 m0, 0x200, s48                                   // 00000000BE40: 807C30FF 00000200
	v_mfma_f32_16x16x32_fp8_fp8 v[148:151], a[238:239], a[38:39], v[148:151]// 00000000BE48: D3F30094 1E524DEE
	v_mfma_f32_16x16x32_fp8_fp8 v[68:71], a[176:177], a[40:41], v[68:71]// 00000000BE50: D3F30044 1D1251B0
	buffer_load_dword v45, s[20:23], 0 offen lds               // 00000000BE58: E0511000 8005002D
	s_add_u32 m0, 0x300, s48                                   // 00000000BE60: 807C30FF 00000300
	v_mfma_f32_16x16x32_fp8_fp8 v[68:71], a[178:179], a[42:43], v[68:71]// 00000000BE68: D3F30044 1D1255B2
	v_mfma_f32_16x16x32_fp8_fp8 v[68:71], a[180:181], a[44:45], v[68:71]// 00000000BE70: D3F30044 1D1259B4
	buffer_load_dword v46, s[20:23], 0 offen lds               // 00000000BE78: E0511000 8005002E
	s_add_u32 m0, 0x400, s48                                   // 00000000BE80: 807C30FF 00000400
	v_mfma_f32_16x16x32_fp8_fp8 v[68:71], a[182:183], a[46:47], v[68:71]// 00000000BE88: D3F30044 1D125DB6
	v_mfma_f32_16x16x32_fp8_fp8 v[80:83], a[184:185], a[40:41], v[80:83]// 00000000BE90: D3F30050 1D4251B8
	buffer_load_dword v47, s[20:23], 0 offen lds               // 00000000BE98: E0511000 8005002F
	s_add_u32 m0, 0x500, s48                                   // 00000000BEA0: 807C30FF 00000500
	v_mfma_f32_16x16x32_fp8_fp8 v[80:83], a[186:187], a[42:43], v[80:83]// 00000000BEA8: D3F30050 1D4255BA
	v_mfma_f32_16x16x32_fp8_fp8 v[80:83], a[188:189], a[44:45], v[80:83]// 00000000BEB0: D3F30050 1D4259BC
	buffer_load_dword v48, s[20:23], 0 offen lds               // 00000000BEB8: E0511000 80050030
	s_add_u32 m0, 0, s49                                       // 00000000BEC0: 807C3180
	v_mfma_f32_16x16x32_fp8_fp8 v[80:83], a[190:191], a[46:47], v[80:83]// 00000000BEC4: D3F30050 1D425DBE
	v_mfma_f32_16x16x32_fp8_fp8 v[92:95], a[192:193], a[40:41], v[92:95]// 00000000BECC: D3F3005C 1D7251C0
	v_mfma_f32_16x16x32_fp8_fp8 v[92:95], a[194:195], a[42:43], v[92:95]// 00000000BED4: D3F3005C 1D7255C2
	v_mfma_f32_16x16x32_fp8_fp8 v[92:95], a[196:197], a[44:45], v[92:95]// 00000000BEDC: D3F3005C 1D7259C4
	v_mfma_f32_16x16x32_fp8_fp8 v[92:95], a[198:199], a[46:47], v[92:95]// 00000000BEE4: D3F3005C 1D725DC6
	v_mfma_f32_16x16x32_fp8_fp8 v[104:107], a[200:201], a[40:41], v[104:107]// 00000000BEEC: D3F30068 1DA251C8
	v_mfma_f32_16x16x32_fp8_fp8 v[104:107], a[202:203], a[42:43], v[104:107]// 00000000BEF4: D3F30068 1DA255CA
	v_mfma_f32_16x16x32_fp8_fp8 v[104:107], a[204:205], a[44:45], v[104:107]// 00000000BEFC: D3F30068 1DA259CC
	v_mfma_f32_16x16x32_fp8_fp8 v[104:107], a[206:207], a[46:47], v[104:107]// 00000000BF04: D3F30068 1DA25DCE
	v_mfma_f32_16x16x32_fp8_fp8 v[116:119], a[208:209], a[40:41], v[116:119]// 00000000BF0C: D3F30074 1DD251D0
	v_mfma_f32_16x16x32_fp8_fp8 v[116:119], a[210:211], a[42:43], v[116:119]// 00000000BF14: D3F30074 1DD255D2
	v_mfma_f32_16x16x32_fp8_fp8 v[116:119], a[212:213], a[44:45], v[116:119]// 00000000BF1C: D3F30074 1DD259D4
	v_mfma_f32_16x16x32_fp8_fp8 v[116:119], a[214:215], a[46:47], v[116:119]// 00000000BF24: D3F30074 1DD25DD6
	v_mfma_f32_16x16x32_fp8_fp8 v[128:131], a[216:217], a[40:41], v[128:131]// 00000000BF2C: D3F30080 1E0251D8
	v_mfma_f32_16x16x32_fp8_fp8 v[128:131], a[218:219], a[42:43], v[128:131]// 00000000BF34: D3F30080 1E0255DA
	v_mfma_f32_16x16x32_fp8_fp8 v[128:131], a[220:221], a[44:45], v[128:131]// 00000000BF3C: D3F30080 1E0259DC
	v_mfma_f32_16x16x32_fp8_fp8 v[128:131], a[222:223], a[46:47], v[128:131]// 00000000BF44: D3F30080 1E025DDE
	v_mfma_f32_16x16x32_fp8_fp8 v[140:143], a[224:225], a[40:41], v[140:143]// 00000000BF4C: D3F3008C 1E3251E0
	v_mfma_f32_16x16x32_fp8_fp8 v[140:143], a[226:227], a[42:43], v[140:143]// 00000000BF54: D3F3008C 1E3255E2
	v_mfma_f32_16x16x32_fp8_fp8 v[140:143], a[228:229], a[44:45], v[140:143]// 00000000BF5C: D3F3008C 1E3259E4
	v_mfma_f32_16x16x32_fp8_fp8 v[140:143], a[230:231], a[46:47], v[140:143]// 00000000BF64: D3F3008C 1E325DE6
	v_mfma_f32_16x16x32_fp8_fp8 v[152:155], a[232:233], a[40:41], v[152:155]// 00000000BF6C: D3F30098 1E6251E8
	v_mfma_f32_16x16x32_fp8_fp8 v[152:155], a[234:235], a[42:43], v[152:155]// 00000000BF74: D3F30098 1E6255EA
	v_mfma_f32_16x16x32_fp8_fp8 v[152:155], a[236:237], a[44:45], v[152:155]// 00000000BF7C: D3F30098 1E6259EC
	v_mfma_f32_16x16x32_fp8_fp8 v[152:155], a[238:239], a[46:47], v[152:155]// 00000000BF84: D3F30098 1E625DEE
	s_waitcnt vmcnt(22)                                        // 00000000BF8C: BF8C4F76
	s_barrier                                                  // 00000000BF90: BF8A0000
	v_mfma_f32_16x16x32_fp8_fp8 v[156:159], a[48:49], a[24:25], v[156:159]// 00000000BF94: D3F3009C 1E723130
	buffer_load_dwordx4 a[176:179], v49, s[84:87], 0 offen     // 00000000BF9C: E05C1000 8095B031
	v_mfma_f32_16x16x32_fp8_fp8 v[156:159], a[50:51], a[26:27], v[156:159]// 00000000BFA4: D3F3009C 1E723532
	v_mfma_f32_16x16x32_fp8_fp8 v[156:159], a[52:53], a[28:29], v[156:159]// 00000000BFAC: D3F3009C 1E723934
	ds_read_b128 a[0:3], v2 offset:12544                       // 00000000BFB4: DBFE3100 00000002
	ds_read_b128 a[4:7], v2 offset:12608                       // 00000000BFBC: DBFE3140 04000002
	v_mfma_f32_16x16x32_fp8_fp8 v[156:159], a[54:55], a[30:31], v[156:159]// 00000000BFC4: D3F3009C 1E723D36
	v_mfma_f32_16x16x32_fp8_fp8 v[168:171], a[56:57], a[24:25], v[168:171]// 00000000BFCC: D3F300A8 1EA23138
	buffer_load_dwordx4 a[180:183], v49, s[84:87], 0 offen offset:1024// 00000000BFD4: E05C1400 8095B431
	v_mfma_f32_16x16x32_fp8_fp8 v[168:171], a[58:59], a[26:27], v[168:171]// 00000000BFDC: D3F300A8 1EA2353A
	v_mfma_f32_16x16x32_fp8_fp8 v[168:171], a[60:61], a[28:29], v[168:171]// 00000000BFE4: D3F300A8 1EA2393C
	ds_read_b128 a[8:11], v2 offset:13056                      // 00000000BFEC: DBFE3300 08000002
	ds_read_b128 a[12:15], v2 offset:13120                     // 00000000BFF4: DBFE3340 0C000002
	v_mfma_f32_16x16x32_fp8_fp8 v[168:171], a[62:63], a[30:31], v[168:171]// 00000000BFFC: D3F300A8 1EA23D3E
	v_mfma_f32_16x16x32_fp8_fp8 v[180:183], a[64:65], a[24:25], v[180:183]// 00000000C004: D3F300B4 1ED23140
	buffer_load_dwordx4 a[184:187], v50, s[84:87], 0 offen     // 00000000C00C: E05C1000 8095B832
	v_mfma_f32_16x16x32_fp8_fp8 v[180:183], a[66:67], a[26:27], v[180:183]// 00000000C014: D3F300B4 1ED23542
	v_mfma_f32_16x16x32_fp8_fp8 v[180:183], a[68:69], a[28:29], v[180:183]// 00000000C01C: D3F300B4 1ED23944
	ds_read_b128 a[16:19], v2 offset:13568                     // 00000000C024: DBFE3500 10000002
	ds_read_b128 a[20:23], v2 offset:13632                     // 00000000C02C: DBFE3540 14000002
	v_mfma_f32_16x16x32_fp8_fp8 v[180:183], a[70:71], a[30:31], v[180:183]// 00000000C034: D3F300B4 1ED23D46
	v_mfma_f32_16x16x32_fp8_fp8 v[192:195], a[72:73], a[24:25], v[192:195]// 00000000C03C: D3F300C0 1F023148
	buffer_load_dwordx4 a[188:191], v50, s[84:87], 0 offen offset:1024// 00000000C044: E05C1400 8095BC32
	v_mfma_f32_16x16x32_fp8_fp8 v[192:195], a[74:75], a[26:27], v[192:195]// 00000000C04C: D3F300C0 1F02354A
	v_mfma_f32_16x16x32_fp8_fp8 v[192:195], a[76:77], a[28:29], v[192:195]// 00000000C054: D3F300C0 1F02394C
	v_mfma_f32_16x16x32_fp8_fp8 v[192:195], a[78:79], a[30:31], v[192:195]// 00000000C05C: D3F300C0 1F023D4E
	v_mfma_f32_16x16x32_fp8_fp8 v[204:207], a[80:81], a[24:25], v[204:207]// 00000000C064: D3F300CC 1F323150
	buffer_load_dwordx4 a[192:195], v51, s[84:87], 0 offen     // 00000000C06C: E05C1000 8095C033
	v_mfma_f32_16x16x32_fp8_fp8 v[204:207], a[82:83], a[26:27], v[204:207]// 00000000C074: D3F300CC 1F323552
	v_mfma_f32_16x16x32_fp8_fp8 v[204:207], a[84:85], a[28:29], v[204:207]// 00000000C07C: D3F300CC 1F323954
	v_mfma_f32_16x16x32_fp8_fp8 v[204:207], a[86:87], a[30:31], v[204:207]// 00000000C084: D3F300CC 1F323D56
	v_mfma_f32_16x16x32_fp8_fp8 v[216:219], a[88:89], a[24:25], v[216:219]// 00000000C08C: D3F300D8 1F623158
	buffer_load_dwordx4 a[196:199], v51, s[84:87], 0 offen offset:1024// 00000000C094: E05C1400 8095C433
	v_mfma_f32_16x16x32_fp8_fp8 v[216:219], a[90:91], a[26:27], v[216:219]// 00000000C09C: D3F300D8 1F62355A
	v_mfma_f32_16x16x32_fp8_fp8 v[216:219], a[92:93], a[28:29], v[216:219]// 00000000C0A4: D3F300D8 1F62395C
	v_mfma_f32_16x16x32_fp8_fp8 v[216:219], a[94:95], a[30:31], v[216:219]// 00000000C0AC: D3F300D8 1F623D5E
	v_mfma_f32_16x16x32_fp8_fp8 v[228:231], a[96:97], a[24:25], v[228:231]// 00000000C0B4: D3F300E4 1F923160
	buffer_load_dwordx4 a[200:203], v52, s[84:87], 0 offen     // 00000000C0BC: E05C1000 8095C834
	v_mfma_f32_16x16x32_fp8_fp8 v[228:231], a[98:99], a[26:27], v[228:231]// 00000000C0C4: D3F300E4 1F923562
	v_mfma_f32_16x16x32_fp8_fp8 v[228:231], a[100:101], a[28:29], v[228:231]// 00000000C0CC: D3F300E4 1F923964
	v_mfma_f32_16x16x32_fp8_fp8 v[228:231], a[102:103], a[30:31], v[228:231]// 00000000C0D4: D3F300E4 1F923D66
	v_mfma_f32_16x16x32_fp8_fp8 v[240:243], a[104:105], a[24:25], v[240:243]// 00000000C0DC: D3F300F0 1FC23168
	buffer_load_dwordx4 a[204:207], v52, s[84:87], 0 offen offset:1024// 00000000C0E4: E05C1400 8095CC34
	v_mfma_f32_16x16x32_fp8_fp8 v[240:243], a[106:107], a[26:27], v[240:243]// 00000000C0EC: D3F300F0 1FC2356A
	v_mfma_f32_16x16x32_fp8_fp8 v[240:243], a[108:109], a[28:29], v[240:243]// 00000000C0F4: D3F300F0 1FC2396C
	v_mfma_f32_16x16x32_fp8_fp8 v[240:243], a[110:111], a[30:31], v[240:243]// 00000000C0FC: D3F300F0 1FC23D6E
	v_mfma_f32_16x16x32_fp8_fp8 v[160:163], a[48:49], a[32:33], v[160:163]// 00000000C104: D3F300A0 1E824130
	buffer_load_dwordx4 a[208:211], v53, s[84:87], 0 offen     // 00000000C10C: E05C1000 8095D035
	v_mfma_f32_16x16x32_fp8_fp8 v[160:163], a[50:51], a[34:35], v[160:163]// 00000000C114: D3F300A0 1E824532
	v_mfma_f32_16x16x32_fp8_fp8 v[160:163], a[52:53], a[36:37], v[160:163]// 00000000C11C: D3F300A0 1E824934
	v_mfma_f32_16x16x32_fp8_fp8 v[160:163], a[54:55], a[38:39], v[160:163]// 00000000C124: D3F300A0 1E824D36
	v_mfma_f32_16x16x32_fp8_fp8 v[172:175], a[56:57], a[32:33], v[172:175]// 00000000C12C: D3F300AC 1EB24138
	buffer_load_dwordx4 a[212:215], v53, s[84:87], 0 offen offset:1024// 00000000C134: E05C1400 8095D435
	v_mfma_f32_16x16x32_fp8_fp8 v[172:175], a[58:59], a[34:35], v[172:175]// 00000000C13C: D3F300AC 1EB2453A
	v_mfma_f32_16x16x32_fp8_fp8 v[172:175], a[60:61], a[36:37], v[172:175]// 00000000C144: D3F300AC 1EB2493C
	v_mfma_f32_16x16x32_fp8_fp8 v[172:175], a[62:63], a[38:39], v[172:175]// 00000000C14C: D3F300AC 1EB24D3E
	v_mfma_f32_16x16x32_fp8_fp8 v[184:187], a[64:65], a[32:33], v[184:187]// 00000000C154: D3F300B8 1EE24140
	buffer_load_dwordx4 a[216:219], v54, s[84:87], 0 offen     // 00000000C15C: E05C1000 8095D836
	v_mfma_f32_16x16x32_fp8_fp8 v[184:187], a[66:67], a[34:35], v[184:187]// 00000000C164: D3F300B8 1EE24542
	v_mfma_f32_16x16x32_fp8_fp8 v[184:187], a[68:69], a[36:37], v[184:187]// 00000000C16C: D3F300B8 1EE24944
	v_mfma_f32_16x16x32_fp8_fp8 v[184:187], a[70:71], a[38:39], v[184:187]// 00000000C174: D3F300B8 1EE24D46
	v_mfma_f32_16x16x32_fp8_fp8 v[196:199], a[72:73], a[32:33], v[196:199]// 00000000C17C: D3F300C4 1F124148
	buffer_load_dwordx4 a[220:223], v54, s[84:87], 0 offen offset:1024// 00000000C184: E05C1400 8095DC36
	v_mfma_f32_16x16x32_fp8_fp8 v[196:199], a[74:75], a[34:35], v[196:199]// 00000000C18C: D3F300C4 1F12454A
	v_mfma_f32_16x16x32_fp8_fp8 v[196:199], a[76:77], a[36:37], v[196:199]// 00000000C194: D3F300C4 1F12494C
	v_mfma_f32_16x16x32_fp8_fp8 v[196:199], a[78:79], a[38:39], v[196:199]// 00000000C19C: D3F300C4 1F124D4E
	v_mfma_f32_16x16x32_fp8_fp8 v[208:211], a[80:81], a[32:33], v[208:211]// 00000000C1A4: D3F300D0 1F424150
	buffer_load_dwordx4 a[224:227], v55, s[84:87], 0 offen     // 00000000C1AC: E05C1000 8095E037
	v_mfma_f32_16x16x32_fp8_fp8 v[208:211], a[82:83], a[34:35], v[208:211]// 00000000C1B4: D3F300D0 1F424552
	v_mfma_f32_16x16x32_fp8_fp8 v[208:211], a[84:85], a[36:37], v[208:211]// 00000000C1BC: D3F300D0 1F424954
	v_mfma_f32_16x16x32_fp8_fp8 v[208:211], a[86:87], a[38:39], v[208:211]// 00000000C1C4: D3F300D0 1F424D56
	v_mfma_f32_16x16x32_fp8_fp8 v[220:223], a[88:89], a[32:33], v[220:223]// 00000000C1CC: D3F300DC 1F724158
	buffer_load_dwordx4 a[228:231], v55, s[84:87], 0 offen offset:1024// 00000000C1D4: E05C1400 8095E437
	v_mfma_f32_16x16x32_fp8_fp8 v[220:223], a[90:91], a[34:35], v[220:223]// 00000000C1DC: D3F300DC 1F72455A
	v_mfma_f32_16x16x32_fp8_fp8 v[220:223], a[92:93], a[36:37], v[220:223]// 00000000C1E4: D3F300DC 1F72495C
	v_mfma_f32_16x16x32_fp8_fp8 v[220:223], a[94:95], a[38:39], v[220:223]// 00000000C1EC: D3F300DC 1F724D5E
	v_mfma_f32_16x16x32_fp8_fp8 v[232:235], a[96:97], a[32:33], v[232:235]// 00000000C1F4: D3F300E8 1FA24160
	buffer_load_dwordx4 a[232:235], v56, s[84:87], 0 offen     // 00000000C1FC: E05C1000 8095E838
	v_mfma_f32_16x16x32_fp8_fp8 v[232:235], a[98:99], a[34:35], v[232:235]// 00000000C204: D3F300E8 1FA24562
	v_mfma_f32_16x16x32_fp8_fp8 v[232:235], a[100:101], a[36:37], v[232:235]// 00000000C20C: D3F300E8 1FA24964
	v_mfma_f32_16x16x32_fp8_fp8 v[232:235], a[102:103], a[38:39], v[232:235]// 00000000C214: D3F300E8 1FA24D66
	v_mfma_f32_16x16x32_fp8_fp8 v[244:247], a[104:105], a[32:33], v[244:247]// 00000000C21C: D3F300F4 1FD24168
	buffer_load_dwordx4 a[236:239], v56, s[84:87], 0 offen offset:1024// 00000000C224: E05C1400 8095EC38
	v_mfma_f32_16x16x32_fp8_fp8 v[244:247], a[106:107], a[34:35], v[244:247]// 00000000C22C: D3F300F4 1FD2456A
	v_mfma_f32_16x16x32_fp8_fp8 v[244:247], a[108:109], a[36:37], v[244:247]// 00000000C234: D3F300F4 1FD2496C
	v_mfma_f32_16x16x32_fp8_fp8 v[244:247], a[110:111], a[38:39], v[244:247]// 00000000C23C: D3F300F4 1FD24D6E
	v_mfma_f32_16x16x32_fp8_fp8 v[164:167], a[48:49], a[40:41], v[164:167]// 00000000C244: D3F300A4 1E925130
	v_mfma_f32_16x16x32_fp8_fp8 v[164:167], a[50:51], a[42:43], v[164:167]// 00000000C24C: D3F300A4 1E925532
	v_mfma_f32_16x16x32_fp8_fp8 v[164:167], a[52:53], a[44:45], v[164:167]// 00000000C254: D3F300A4 1E925934
	v_mfma_f32_16x16x32_fp8_fp8 v[164:167], a[54:55], a[46:47], v[164:167]// 00000000C25C: D3F300A4 1E925D36
	v_mfma_f32_16x16x32_fp8_fp8 v[176:179], a[56:57], a[40:41], v[176:179]// 00000000C264: D3F300B0 1EC25138
	v_mfma_f32_16x16x32_fp8_fp8 v[176:179], a[58:59], a[42:43], v[176:179]// 00000000C26C: D3F300B0 1EC2553A
	v_mfma_f32_16x16x32_fp8_fp8 v[176:179], a[60:61], a[44:45], v[176:179]// 00000000C274: D3F300B0 1EC2593C
	v_mfma_f32_16x16x32_fp8_fp8 v[176:179], a[62:63], a[46:47], v[176:179]// 00000000C27C: D3F300B0 1EC25D3E
	v_mfma_f32_16x16x32_fp8_fp8 v[188:191], a[64:65], a[40:41], v[188:191]// 00000000C284: D3F300BC 1EF25140
	v_mfma_f32_16x16x32_fp8_fp8 v[188:191], a[66:67], a[42:43], v[188:191]// 00000000C28C: D3F300BC 1EF25542
	v_mfma_f32_16x16x32_fp8_fp8 v[188:191], a[68:69], a[44:45], v[188:191]// 00000000C294: D3F300BC 1EF25944
	v_mfma_f32_16x16x32_fp8_fp8 v[188:191], a[70:71], a[46:47], v[188:191]// 00000000C29C: D3F300BC 1EF25D46
	v_mfma_f32_16x16x32_fp8_fp8 v[200:203], a[72:73], a[40:41], v[200:203]// 00000000C2A4: D3F300C8 1F225148
	v_mfma_f32_16x16x32_fp8_fp8 v[200:203], a[74:75], a[42:43], v[200:203]// 00000000C2AC: D3F300C8 1F22554A
	v_mfma_f32_16x16x32_fp8_fp8 v[200:203], a[76:77], a[44:45], v[200:203]// 00000000C2B4: D3F300C8 1F22594C
	v_mfma_f32_16x16x32_fp8_fp8 v[200:203], a[78:79], a[46:47], v[200:203]// 00000000C2BC: D3F300C8 1F225D4E
	v_mfma_f32_16x16x32_fp8_fp8 v[212:215], a[80:81], a[40:41], v[212:215]// 00000000C2C4: D3F300D4 1F525150
	v_mfma_f32_16x16x32_fp8_fp8 v[212:215], a[82:83], a[42:43], v[212:215]// 00000000C2CC: D3F300D4 1F525552
	v_mfma_f32_16x16x32_fp8_fp8 v[212:215], a[84:85], a[44:45], v[212:215]// 00000000C2D4: D3F300D4 1F525954
	v_mfma_f32_16x16x32_fp8_fp8 v[212:215], a[86:87], a[46:47], v[212:215]// 00000000C2DC: D3F300D4 1F525D56
	v_mfma_f32_16x16x32_fp8_fp8 v[224:227], a[88:89], a[40:41], v[224:227]// 00000000C2E4: D3F300E0 1F825158
	v_mfma_f32_16x16x32_fp8_fp8 v[224:227], a[90:91], a[42:43], v[224:227]// 00000000C2EC: D3F300E0 1F82555A
	v_mfma_f32_16x16x32_fp8_fp8 v[224:227], a[92:93], a[44:45], v[224:227]// 00000000C2F4: D3F300E0 1F82595C
	v_mfma_f32_16x16x32_fp8_fp8 v[224:227], a[94:95], a[46:47], v[224:227]// 00000000C2FC: D3F300E0 1F825D5E
	v_mfma_f32_16x16x32_fp8_fp8 v[236:239], a[96:97], a[40:41], v[236:239]// 00000000C304: D3F300EC 1FB25160
	s_add_u32 s60, 0x180, s80                                  // 00000000C30C: 803C50FF 00000180
	s_cmp_lt_u32 s60, s81                                      // 00000000C314: BF0A513C
	s_cselect_b32 s57, s57, 0                                  // 00000000C318: 85398039
	v_mfma_f32_16x16x32_fp8_fp8 v[236:239], a[98:99], a[42:43], v[236:239]// 00000000C31C: D3F300EC 1FB25562
	s_add_u32 s60, 0x100, s80                                  // 00000000C324: 803C50FF 00000100
	s_cmp_lt_u32 s60, s81                                      // 00000000C32C: BF0A513C
	s_cselect_b32 s58, s58, 0                                  // 00000000C330: 853A803A
	v_mfma_f32_16x16x32_fp8_fp8 v[236:239], a[100:101], a[44:45], v[236:239]// 00000000C334: D3F300EC 1FB25964
	s_add_u32 s60, 0x100, s80                                  // 00000000C33C: 803C50FF 00000100
	s_cmp_lt_u32 s60, s81                                      // 00000000C344: BF0A513C
	s_cselect_b32 s83, s83, 0                                  // 00000000C348: 85538053
	v_mfma_f32_16x16x32_fp8_fp8 v[236:239], a[102:103], a[46:47], v[236:239]// 00000000C34C: D3F300EC 1FB25D66
	s_add_u32 s24, s58, s24                                    // 00000000C354: 8018183A
	s_addc_u32 s25, 0, s25                                     // 00000000C358: 82191980
	v_mfma_f32_16x16x32_fp8_fp8 v[248:251], a[104:105], a[40:41], v[248:251]// 00000000C35C: D3F300F8 1FE25168
	s_add_u32 s20, s57, s20                                    // 00000000C364: 80141439
	s_addc_u32 s21, 0, s21                                     // 00000000C368: 82151580
	v_mfma_f32_16x16x32_fp8_fp8 v[248:251], a[106:107], a[42:43], v[248:251]// 00000000C36C: D3F300F8 1FE2556A
	s_add_u32 s84, s83, s84                                    // 00000000C374: 80545453
	s_addc_u32 s85, 0, s85                                     // 00000000C378: 82555580
	v_mfma_f32_16x16x32_fp8_fp8 v[248:251], a[108:109], a[44:45], v[248:251]// 00000000C37C: D3F300F8 1FE2596C
	v_mfma_f32_16x16x32_fp8_fp8 v[248:251], a[110:111], a[46:47], v[248:251]// 00000000C384: D3F300F8 1FE25D6E
	s_addk_i32 s80, 0x80                                       // 00000000C38C: B7500080
	s_cmp_lt_i32 s80, s81                                      // 00000000C390: BF045150
	s_cbranch_scc0 label_2E56                                  // 00000000C394: BF8407ED
	s_waitcnt vmcnt(22) lgkmcnt(0)                             // 00000000C398: BF8C4076
	v_mfma_f32_16x16x32_fp8_fp8 v[60:63], a[112:113], a[0:1], v[60:63]// 00000000C39C: D3F3003C 1CF20170
	buffer_load_dwordx4 a[48:51], v49, s[24:27], 0 offen       // 00000000C3A4: E05C1000 80863031
	v_mfma_f32_16x16x32_fp8_fp8 v[60:63], a[114:115], a[2:3], v[60:63]// 00000000C3AC: D3F3003C 1CF20572
	v_mfma_f32_16x16x32_fp8_fp8 v[60:63], a[116:117], a[4:5], v[60:63]// 00000000C3B4: D3F3003C 1CF20974
	v_mfma_f32_16x16x32_fp8_fp8 v[60:63], a[118:119], a[6:7], v[60:63]// 00000000C3BC: D3F3003C 1CF20D76
	v_mfma_f32_16x16x32_fp8_fp8 v[72:75], a[120:121], a[0:1], v[72:75]// 00000000C3C4: D3F30048 1D220178
	buffer_load_dwordx4 a[52:55], v49, s[24:27], 0 offen offset:1024// 00000000C3CC: E05C1400 80863431
	v_mfma_f32_16x16x32_fp8_fp8 v[72:75], a[122:123], a[2:3], v[72:75]// 00000000C3D4: D3F30048 1D22057A
	v_mfma_f32_16x16x32_fp8_fp8 v[72:75], a[124:125], a[4:5], v[72:75]// 00000000C3DC: D3F30048 1D22097C
	v_mfma_f32_16x16x32_fp8_fp8 v[72:75], a[126:127], a[6:7], v[72:75]// 00000000C3E4: D3F30048 1D220D7E
	v_mfma_f32_16x16x32_fp8_fp8 v[84:87], a[128:129], a[0:1], v[84:87]// 00000000C3EC: D3F30054 1D520180
	buffer_load_dwordx4 a[56:59], v50, s[24:27], 0 offen       // 00000000C3F4: E05C1000 80863832
	v_mfma_f32_16x16x32_fp8_fp8 v[84:87], a[130:131], a[2:3], v[84:87]// 00000000C3FC: D3F30054 1D520582
	v_mfma_f32_16x16x32_fp8_fp8 v[84:87], a[132:133], a[4:5], v[84:87]// 00000000C404: D3F30054 1D520984
	v_mfma_f32_16x16x32_fp8_fp8 v[84:87], a[134:135], a[6:7], v[84:87]// 00000000C40C: D3F30054 1D520D86
	v_mfma_f32_16x16x32_fp8_fp8 v[96:99], a[136:137], a[0:1], v[96:99]// 00000000C414: D3F30060 1D820188
	buffer_load_dwordx4 a[60:63], v50, s[24:27], 0 offen offset:1024// 00000000C41C: E05C1400 80863C32
	v_mfma_f32_16x16x32_fp8_fp8 v[96:99], a[138:139], a[2:3], v[96:99]// 00000000C424: D3F30060 1D82058A
	v_mfma_f32_16x16x32_fp8_fp8 v[96:99], a[140:141], a[4:5], v[96:99]// 00000000C42C: D3F30060 1D82098C
	v_mfma_f32_16x16x32_fp8_fp8 v[96:99], a[142:143], a[6:7], v[96:99]// 00000000C434: D3F30060 1D820D8E
	v_mfma_f32_16x16x32_fp8_fp8 v[108:111], a[144:145], a[0:1], v[108:111]// 00000000C43C: D3F3006C 1DB20190
	buffer_load_dwordx4 a[64:67], v51, s[24:27], 0 offen       // 00000000C444: E05C1000 80864033
	v_mfma_f32_16x16x32_fp8_fp8 v[108:111], a[146:147], a[2:3], v[108:111]// 00000000C44C: D3F3006C 1DB20592
	v_mfma_f32_16x16x32_fp8_fp8 v[108:111], a[148:149], a[4:5], v[108:111]// 00000000C454: D3F3006C 1DB20994
	v_mfma_f32_16x16x32_fp8_fp8 v[108:111], a[150:151], a[6:7], v[108:111]// 00000000C45C: D3F3006C 1DB20D96
	v_mfma_f32_16x16x32_fp8_fp8 v[120:123], a[152:153], a[0:1], v[120:123]// 00000000C464: D3F30078 1DE20198
	buffer_load_dwordx4 a[68:71], v51, s[24:27], 0 offen offset:1024// 00000000C46C: E05C1400 80864433
	v_mfma_f32_16x16x32_fp8_fp8 v[120:123], a[154:155], a[2:3], v[120:123]// 00000000C474: D3F30078 1DE2059A
	v_mfma_f32_16x16x32_fp8_fp8 v[120:123], a[156:157], a[4:5], v[120:123]// 00000000C47C: D3F30078 1DE2099C
	v_mfma_f32_16x16x32_fp8_fp8 v[120:123], a[158:159], a[6:7], v[120:123]// 00000000C484: D3F30078 1DE20D9E
	v_mfma_f32_16x16x32_fp8_fp8 v[132:135], a[160:161], a[0:1], v[132:135]// 00000000C48C: D3F30084 1E1201A0
	buffer_load_dwordx4 a[72:75], v52, s[24:27], 0 offen       // 00000000C494: E05C1000 80864834
	v_mfma_f32_16x16x32_fp8_fp8 v[132:135], a[162:163], a[2:3], v[132:135]// 00000000C49C: D3F30084 1E1205A2
	v_mfma_f32_16x16x32_fp8_fp8 v[132:135], a[164:165], a[4:5], v[132:135]// 00000000C4A4: D3F30084 1E1209A4
	v_mfma_f32_16x16x32_fp8_fp8 v[132:135], a[166:167], a[6:7], v[132:135]// 00000000C4AC: D3F30084 1E120DA6
	v_mfma_f32_16x16x32_fp8_fp8 v[144:147], a[168:169], a[0:1], v[144:147]// 00000000C4B4: D3F30090 1E4201A8
	buffer_load_dwordx4 a[76:79], v52, s[24:27], 0 offen offset:1024// 00000000C4BC: E05C1400 80864C34
	v_mfma_f32_16x16x32_fp8_fp8 v[144:147], a[170:171], a[2:3], v[144:147]// 00000000C4C4: D3F30090 1E4205AA
	v_mfma_f32_16x16x32_fp8_fp8 v[144:147], a[172:173], a[4:5], v[144:147]// 00000000C4CC: D3F30090 1E4209AC
	v_mfma_f32_16x16x32_fp8_fp8 v[144:147], a[174:175], a[6:7], v[144:147]// 00000000C4D4: D3F30090 1E420DAE
	v_mfma_f32_16x16x32_fp8_fp8 v[64:67], a[112:113], a[8:9], v[64:67]// 00000000C4DC: D3F30040 1D021170
	buffer_load_dwordx4 a[80:83], v53, s[24:27], 0 offen       // 00000000C4E4: E05C1000 80865035
	v_mfma_f32_16x16x32_fp8_fp8 v[64:67], a[114:115], a[10:11], v[64:67]// 00000000C4EC: D3F30040 1D021572
	v_mfma_f32_16x16x32_fp8_fp8 v[64:67], a[116:117], a[12:13], v[64:67]// 00000000C4F4: D3F30040 1D021974
	v_mfma_f32_16x16x32_fp8_fp8 v[64:67], a[118:119], a[14:15], v[64:67]// 00000000C4FC: D3F30040 1D021D76
	v_mfma_f32_16x16x32_fp8_fp8 v[76:79], a[120:121], a[8:9], v[76:79]// 00000000C504: D3F3004C 1D321178
	buffer_load_dwordx4 a[84:87], v53, s[24:27], 0 offen offset:1024// 00000000C50C: E05C1400 80865435
	v_mfma_f32_16x16x32_fp8_fp8 v[76:79], a[122:123], a[10:11], v[76:79]// 00000000C514: D3F3004C 1D32157A
	v_mfma_f32_16x16x32_fp8_fp8 v[76:79], a[124:125], a[12:13], v[76:79]// 00000000C51C: D3F3004C 1D32197C
	v_mfma_f32_16x16x32_fp8_fp8 v[76:79], a[126:127], a[14:15], v[76:79]// 00000000C524: D3F3004C 1D321D7E
	v_mfma_f32_16x16x32_fp8_fp8 v[88:91], a[128:129], a[8:9], v[88:91]// 00000000C52C: D3F30058 1D621180
	buffer_load_dwordx4 a[88:91], v54, s[24:27], 0 offen       // 00000000C534: E05C1000 80865836
	v_mfma_f32_16x16x32_fp8_fp8 v[88:91], a[130:131], a[10:11], v[88:91]// 00000000C53C: D3F30058 1D621582
	v_mfma_f32_16x16x32_fp8_fp8 v[88:91], a[132:133], a[12:13], v[88:91]// 00000000C544: D3F30058 1D621984
	v_mfma_f32_16x16x32_fp8_fp8 v[88:91], a[134:135], a[14:15], v[88:91]// 00000000C54C: D3F30058 1D621D86
	v_mfma_f32_16x16x32_fp8_fp8 v[100:103], a[136:137], a[8:9], v[100:103]// 00000000C554: D3F30064 1D921188
	buffer_load_dwordx4 a[92:95], v54, s[24:27], 0 offen offset:1024// 00000000C55C: E05C1400 80865C36
	v_mfma_f32_16x16x32_fp8_fp8 v[100:103], a[138:139], a[10:11], v[100:103]// 00000000C564: D3F30064 1D92158A
	v_mfma_f32_16x16x32_fp8_fp8 v[100:103], a[140:141], a[12:13], v[100:103]// 00000000C56C: D3F30064 1D92198C
	v_mfma_f32_16x16x32_fp8_fp8 v[100:103], a[142:143], a[14:15], v[100:103]// 00000000C574: D3F30064 1D921D8E
	v_mfma_f32_16x16x32_fp8_fp8 v[112:115], a[144:145], a[8:9], v[112:115]// 00000000C57C: D3F30070 1DC21190
	buffer_load_dwordx4 a[96:99], v55, s[24:27], 0 offen       // 00000000C584: E05C1000 80866037
	v_mfma_f32_16x16x32_fp8_fp8 v[112:115], a[146:147], a[10:11], v[112:115]// 00000000C58C: D3F30070 1DC21592
	v_mfma_f32_16x16x32_fp8_fp8 v[112:115], a[148:149], a[12:13], v[112:115]// 00000000C594: D3F30070 1DC21994
	v_mfma_f32_16x16x32_fp8_fp8 v[112:115], a[150:151], a[14:15], v[112:115]// 00000000C59C: D3F30070 1DC21D96
	v_mfma_f32_16x16x32_fp8_fp8 v[124:127], a[152:153], a[8:9], v[124:127]// 00000000C5A4: D3F3007C 1DF21198
	buffer_load_dwordx4 a[100:103], v55, s[24:27], 0 offen offset:1024// 00000000C5AC: E05C1400 80866437
	v_mfma_f32_16x16x32_fp8_fp8 v[124:127], a[154:155], a[10:11], v[124:127]// 00000000C5B4: D3F3007C 1DF2159A
	v_mfma_f32_16x16x32_fp8_fp8 v[124:127], a[156:157], a[12:13], v[124:127]// 00000000C5BC: D3F3007C 1DF2199C
	v_mfma_f32_16x16x32_fp8_fp8 v[124:127], a[158:159], a[14:15], v[124:127]// 00000000C5C4: D3F3007C 1DF21D9E
	v_mfma_f32_16x16x32_fp8_fp8 v[136:139], a[160:161], a[8:9], v[136:139]// 00000000C5CC: D3F30088 1E2211A0
	buffer_load_dwordx4 a[104:107], v56, s[24:27], 0 offen     // 00000000C5D4: E05C1000 80866838
	v_mfma_f32_16x16x32_fp8_fp8 v[136:139], a[162:163], a[10:11], v[136:139]// 00000000C5DC: D3F30088 1E2215A2
	v_mfma_f32_16x16x32_fp8_fp8 v[136:139], a[164:165], a[12:13], v[136:139]// 00000000C5E4: D3F30088 1E2219A4
	v_mfma_f32_16x16x32_fp8_fp8 v[136:139], a[166:167], a[14:15], v[136:139]// 00000000C5EC: D3F30088 1E221DA6
	v_mfma_f32_16x16x32_fp8_fp8 v[148:151], a[168:169], a[8:9], v[148:151]// 00000000C5F4: D3F30094 1E5211A8
	buffer_load_dwordx4 a[108:111], v56, s[24:27], 0 offen offset:1024// 00000000C5FC: E05C1400 80866C38
	buffer_load_dword v43, s[20:23], 0 offen lds               // 00000000C604: E0511000 8005002B
	s_add_u32 m0, 0x100, s49                                   // 00000000C60C: 807C31FF 00000100
	v_mfma_f32_16x16x32_fp8_fp8 v[148:151], a[170:171], a[10:11], v[148:151]// 00000000C614: D3F30094 1E5215AA
	v_mfma_f32_16x16x32_fp8_fp8 v[148:151], a[172:173], a[12:13], v[148:151]// 00000000C61C: D3F30094 1E5219AC
	buffer_load_dword v44, s[20:23], 0 offen lds               // 00000000C624: E0511000 8005002C
	s_add_u32 m0, 0x200, s49                                   // 00000000C62C: 807C31FF 00000200
	v_mfma_f32_16x16x32_fp8_fp8 v[148:151], a[174:175], a[14:15], v[148:151]// 00000000C634: D3F30094 1E521DAE
	v_mfma_f32_16x16x32_fp8_fp8 v[68:71], a[112:113], a[16:17], v[68:71]// 00000000C63C: D3F30044 1D122170
	buffer_load_dword v45, s[20:23], 0 offen lds               // 00000000C644: E0511000 8005002D
	s_add_u32 m0, 0x300, s49                                   // 00000000C64C: 807C31FF 00000300
	v_mfma_f32_16x16x32_fp8_fp8 v[68:71], a[114:115], a[18:19], v[68:71]// 00000000C654: D3F30044 1D122572
	v_mfma_f32_16x16x32_fp8_fp8 v[68:71], a[116:117], a[20:21], v[68:71]// 00000000C65C: D3F30044 1D122974
	buffer_load_dword v46, s[20:23], 0 offen lds               // 00000000C664: E0511000 8005002E
	s_add_u32 m0, 0x400, s49                                   // 00000000C66C: 807C31FF 00000400
	v_mfma_f32_16x16x32_fp8_fp8 v[68:71], a[118:119], a[22:23], v[68:71]// 00000000C674: D3F30044 1D122D76
	v_mfma_f32_16x16x32_fp8_fp8 v[80:83], a[120:121], a[16:17], v[80:83]// 00000000C67C: D3F30050 1D422178
	buffer_load_dword v47, s[20:23], 0 offen lds               // 00000000C684: E0511000 8005002F
	s_add_u32 m0, 0x500, s49                                   // 00000000C68C: 807C31FF 00000500
	v_mfma_f32_16x16x32_fp8_fp8 v[80:83], a[122:123], a[18:19], v[80:83]// 00000000C694: D3F30050 1D42257A
	v_mfma_f32_16x16x32_fp8_fp8 v[80:83], a[124:125], a[20:21], v[80:83]// 00000000C69C: D3F30050 1D42297C
	buffer_load_dword v48, s[20:23], 0 offen lds               // 00000000C6A4: E0511000 80050030
	s_add_u32 m0, 0, s50                                       // 00000000C6AC: 807C3280
	v_mfma_f32_16x16x32_fp8_fp8 v[80:83], a[126:127], a[22:23], v[80:83]// 00000000C6B0: D3F30050 1D422D7E
	v_mfma_f32_16x16x32_fp8_fp8 v[92:95], a[128:129], a[16:17], v[92:95]// 00000000C6B8: D3F3005C 1D722180
	v_mfma_f32_16x16x32_fp8_fp8 v[92:95], a[130:131], a[18:19], v[92:95]// 00000000C6C0: D3F3005C 1D722582
	v_mfma_f32_16x16x32_fp8_fp8 v[92:95], a[132:133], a[20:21], v[92:95]// 00000000C6C8: D3F3005C 1D722984
	v_mfma_f32_16x16x32_fp8_fp8 v[92:95], a[134:135], a[22:23], v[92:95]// 00000000C6D0: D3F3005C 1D722D86
	v_mfma_f32_16x16x32_fp8_fp8 v[104:107], a[136:137], a[16:17], v[104:107]// 00000000C6D8: D3F30068 1DA22188
	v_mfma_f32_16x16x32_fp8_fp8 v[104:107], a[138:139], a[18:19], v[104:107]// 00000000C6E0: D3F30068 1DA2258A
	v_mfma_f32_16x16x32_fp8_fp8 v[104:107], a[140:141], a[20:21], v[104:107]// 00000000C6E8: D3F30068 1DA2298C
	v_mfma_f32_16x16x32_fp8_fp8 v[104:107], a[142:143], a[22:23], v[104:107]// 00000000C6F0: D3F30068 1DA22D8E
	v_mfma_f32_16x16x32_fp8_fp8 v[116:119], a[144:145], a[16:17], v[116:119]// 00000000C6F8: D3F30074 1DD22190
	v_mfma_f32_16x16x32_fp8_fp8 v[116:119], a[146:147], a[18:19], v[116:119]// 00000000C700: D3F30074 1DD22592
	v_mfma_f32_16x16x32_fp8_fp8 v[116:119], a[148:149], a[20:21], v[116:119]// 00000000C708: D3F30074 1DD22994
	v_mfma_f32_16x16x32_fp8_fp8 v[116:119], a[150:151], a[22:23], v[116:119]// 00000000C710: D3F30074 1DD22D96
	v_mfma_f32_16x16x32_fp8_fp8 v[128:131], a[152:153], a[16:17], v[128:131]// 00000000C718: D3F30080 1E022198
	v_mfma_f32_16x16x32_fp8_fp8 v[128:131], a[154:155], a[18:19], v[128:131]// 00000000C720: D3F30080 1E02259A
	v_mfma_f32_16x16x32_fp8_fp8 v[128:131], a[156:157], a[20:21], v[128:131]// 00000000C728: D3F30080 1E02299C
	v_mfma_f32_16x16x32_fp8_fp8 v[128:131], a[158:159], a[22:23], v[128:131]// 00000000C730: D3F30080 1E022D9E
	v_mfma_f32_16x16x32_fp8_fp8 v[140:143], a[160:161], a[16:17], v[140:143]// 00000000C738: D3F3008C 1E3221A0
	v_mfma_f32_16x16x32_fp8_fp8 v[140:143], a[162:163], a[18:19], v[140:143]// 00000000C740: D3F3008C 1E3225A2
	v_mfma_f32_16x16x32_fp8_fp8 v[140:143], a[164:165], a[20:21], v[140:143]// 00000000C748: D3F3008C 1E3229A4
	v_mfma_f32_16x16x32_fp8_fp8 v[140:143], a[166:167], a[22:23], v[140:143]// 00000000C750: D3F3008C 1E322DA6
	v_mfma_f32_16x16x32_fp8_fp8 v[152:155], a[168:169], a[16:17], v[152:155]// 00000000C758: D3F30098 1E6221A8
	v_mfma_f32_16x16x32_fp8_fp8 v[152:155], a[170:171], a[18:19], v[152:155]// 00000000C760: D3F30098 1E6225AA
	v_mfma_f32_16x16x32_fp8_fp8 v[152:155], a[172:173], a[20:21], v[152:155]// 00000000C768: D3F30098 1E6229AC
	v_mfma_f32_16x16x32_fp8_fp8 v[152:155], a[174:175], a[22:23], v[152:155]// 00000000C770: D3F30098 1E622DAE
	s_waitcnt vmcnt(22)                                        // 00000000C778: BF8C4F76
	s_barrier                                                  // 00000000C77C: BF8A0000
	v_mfma_f32_16x16x32_fp8_fp8 v[156:159], a[176:177], a[0:1], v[156:159]// 00000000C780: D3F3009C 1E7201B0
	buffer_load_dwordx4 a[112:115], v49, s[84:87], 0 offen     // 00000000C788: E05C1000 80957031
	v_mfma_f32_16x16x32_fp8_fp8 v[156:159], a[178:179], a[2:3], v[156:159]// 00000000C790: D3F3009C 1E7205B2
	v_mfma_f32_16x16x32_fp8_fp8 v[156:159], a[180:181], a[4:5], v[156:159]// 00000000C798: D3F3009C 1E7209B4
	ds_read_b128 a[24:27], v2                                  // 00000000C7A0: DBFE0000 18000002
	ds_read_b128 a[28:31], v2 offset:64                        // 00000000C7A8: DBFE0040 1C000002
	v_mfma_f32_16x16x32_fp8_fp8 v[156:159], a[182:183], a[6:7], v[156:159]// 00000000C7B0: D3F3009C 1E720DB6
	v_mfma_f32_16x16x32_fp8_fp8 v[168:171], a[184:185], a[0:1], v[168:171]// 00000000C7B8: D3F300A8 1EA201B8
	buffer_load_dwordx4 a[116:119], v49, s[84:87], 0 offen offset:1024// 00000000C7C0: E05C1400 80957431
	v_mfma_f32_16x16x32_fp8_fp8 v[168:171], a[186:187], a[2:3], v[168:171]// 00000000C7C8: D3F300A8 1EA205BA
	v_mfma_f32_16x16x32_fp8_fp8 v[168:171], a[188:189], a[4:5], v[168:171]// 00000000C7D0: D3F300A8 1EA209BC
	ds_read_b128 a[32:35], v2 offset:512                       // 00000000C7D8: DBFE0200 20000002
	ds_read_b128 a[36:39], v2 offset:576                       // 00000000C7E0: DBFE0240 24000002
	v_mfma_f32_16x16x32_fp8_fp8 v[168:171], a[190:191], a[6:7], v[168:171]// 00000000C7E8: D3F300A8 1EA20DBE
	v_mfma_f32_16x16x32_fp8_fp8 v[180:183], a[192:193], a[0:1], v[180:183]// 00000000C7F0: D3F300B4 1ED201C0
	buffer_load_dwordx4 a[120:123], v50, s[84:87], 0 offen     // 00000000C7F8: E05C1000 80957832
	v_mfma_f32_16x16x32_fp8_fp8 v[180:183], a[194:195], a[2:3], v[180:183]// 00000000C800: D3F300B4 1ED205C2
	v_mfma_f32_16x16x32_fp8_fp8 v[180:183], a[196:197], a[4:5], v[180:183]// 00000000C808: D3F300B4 1ED209C4
	ds_read_b128 a[40:43], v2 offset:1024                      // 00000000C810: DBFE0400 28000002
	ds_read_b128 a[44:47], v2 offset:1088                      // 00000000C818: DBFE0440 2C000002
	v_mfma_f32_16x16x32_fp8_fp8 v[180:183], a[198:199], a[6:7], v[180:183]// 00000000C820: D3F300B4 1ED20DC6
	v_mfma_f32_16x16x32_fp8_fp8 v[192:195], a[200:201], a[0:1], v[192:195]// 00000000C828: D3F300C0 1F0201C8
	buffer_load_dwordx4 a[124:127], v50, s[84:87], 0 offen offset:1024// 00000000C830: E05C1400 80957C32
	v_mfma_f32_16x16x32_fp8_fp8 v[192:195], a[202:203], a[2:3], v[192:195]// 00000000C838: D3F300C0 1F0205CA
	v_mfma_f32_16x16x32_fp8_fp8 v[192:195], a[204:205], a[4:5], v[192:195]// 00000000C840: D3F300C0 1F0209CC
	v_mfma_f32_16x16x32_fp8_fp8 v[192:195], a[206:207], a[6:7], v[192:195]// 00000000C848: D3F300C0 1F020DCE
	v_mfma_f32_16x16x32_fp8_fp8 v[204:207], a[208:209], a[0:1], v[204:207]// 00000000C850: D3F300CC 1F3201D0
	buffer_load_dwordx4 a[128:131], v51, s[84:87], 0 offen     // 00000000C858: E05C1000 80958033
	v_mfma_f32_16x16x32_fp8_fp8 v[204:207], a[210:211], a[2:3], v[204:207]// 00000000C860: D3F300CC 1F3205D2
	v_mfma_f32_16x16x32_fp8_fp8 v[204:207], a[212:213], a[4:5], v[204:207]// 00000000C868: D3F300CC 1F3209D4
	v_mfma_f32_16x16x32_fp8_fp8 v[204:207], a[214:215], a[6:7], v[204:207]// 00000000C870: D3F300CC 1F320DD6
	v_mfma_f32_16x16x32_fp8_fp8 v[216:219], a[216:217], a[0:1], v[216:219]// 00000000C878: D3F300D8 1F6201D8
	buffer_load_dwordx4 a[132:135], v51, s[84:87], 0 offen offset:1024// 00000000C880: E05C1400 80958433
	v_mfma_f32_16x16x32_fp8_fp8 v[216:219], a[218:219], a[2:3], v[216:219]// 00000000C888: D3F300D8 1F6205DA
	v_mfma_f32_16x16x32_fp8_fp8 v[216:219], a[220:221], a[4:5], v[216:219]// 00000000C890: D3F300D8 1F6209DC
	v_mfma_f32_16x16x32_fp8_fp8 v[216:219], a[222:223], a[6:7], v[216:219]// 00000000C898: D3F300D8 1F620DDE
	v_mfma_f32_16x16x32_fp8_fp8 v[228:231], a[224:225], a[0:1], v[228:231]// 00000000C8A0: D3F300E4 1F9201E0
	buffer_load_dwordx4 a[136:139], v52, s[84:87], 0 offen     // 00000000C8A8: E05C1000 80958834
	v_mfma_f32_16x16x32_fp8_fp8 v[228:231], a[226:227], a[2:3], v[228:231]// 00000000C8B0: D3F300E4 1F9205E2
	v_mfma_f32_16x16x32_fp8_fp8 v[228:231], a[228:229], a[4:5], v[228:231]// 00000000C8B8: D3F300E4 1F9209E4
	v_mfma_f32_16x16x32_fp8_fp8 v[228:231], a[230:231], a[6:7], v[228:231]// 00000000C8C0: D3F300E4 1F920DE6
	v_mfma_f32_16x16x32_fp8_fp8 v[240:243], a[232:233], a[0:1], v[240:243]// 00000000C8C8: D3F300F0 1FC201E8
	buffer_load_dwordx4 a[140:143], v52, s[84:87], 0 offen offset:1024// 00000000C8D0: E05C1400 80958C34
	v_mfma_f32_16x16x32_fp8_fp8 v[240:243], a[234:235], a[2:3], v[240:243]// 00000000C8D8: D3F300F0 1FC205EA
	v_mfma_f32_16x16x32_fp8_fp8 v[240:243], a[236:237], a[4:5], v[240:243]// 00000000C8E0: D3F300F0 1FC209EC
	v_mfma_f32_16x16x32_fp8_fp8 v[240:243], a[238:239], a[6:7], v[240:243]// 00000000C8E8: D3F300F0 1FC20DEE
	v_mfma_f32_16x16x32_fp8_fp8 v[160:163], a[176:177], a[8:9], v[160:163]// 00000000C8F0: D3F300A0 1E8211B0
	buffer_load_dwordx4 a[144:147], v53, s[84:87], 0 offen     // 00000000C8F8: E05C1000 80959035
	v_mfma_f32_16x16x32_fp8_fp8 v[160:163], a[178:179], a[10:11], v[160:163]// 00000000C900: D3F300A0 1E8215B2
	v_mfma_f32_16x16x32_fp8_fp8 v[160:163], a[180:181], a[12:13], v[160:163]// 00000000C908: D3F300A0 1E8219B4
	v_mfma_f32_16x16x32_fp8_fp8 v[160:163], a[182:183], a[14:15], v[160:163]// 00000000C910: D3F300A0 1E821DB6
	v_mfma_f32_16x16x32_fp8_fp8 v[172:175], a[184:185], a[8:9], v[172:175]// 00000000C918: D3F300AC 1EB211B8
	buffer_load_dwordx4 a[148:151], v53, s[84:87], 0 offen offset:1024// 00000000C920: E05C1400 80959435
	v_mfma_f32_16x16x32_fp8_fp8 v[172:175], a[186:187], a[10:11], v[172:175]// 00000000C928: D3F300AC 1EB215BA
	v_mfma_f32_16x16x32_fp8_fp8 v[172:175], a[188:189], a[12:13], v[172:175]// 00000000C930: D3F300AC 1EB219BC
	v_mfma_f32_16x16x32_fp8_fp8 v[172:175], a[190:191], a[14:15], v[172:175]// 00000000C938: D3F300AC 1EB21DBE
	v_mfma_f32_16x16x32_fp8_fp8 v[184:187], a[192:193], a[8:9], v[184:187]// 00000000C940: D3F300B8 1EE211C0
	buffer_load_dwordx4 a[152:155], v54, s[84:87], 0 offen     // 00000000C948: E05C1000 80959836
	v_mfma_f32_16x16x32_fp8_fp8 v[184:187], a[194:195], a[10:11], v[184:187]// 00000000C950: D3F300B8 1EE215C2
	v_mfma_f32_16x16x32_fp8_fp8 v[184:187], a[196:197], a[12:13], v[184:187]// 00000000C958: D3F300B8 1EE219C4
	v_mfma_f32_16x16x32_fp8_fp8 v[184:187], a[198:199], a[14:15], v[184:187]// 00000000C960: D3F300B8 1EE21DC6
	v_mfma_f32_16x16x32_fp8_fp8 v[196:199], a[200:201], a[8:9], v[196:199]// 00000000C968: D3F300C4 1F1211C8
	buffer_load_dwordx4 a[156:159], v54, s[84:87], 0 offen offset:1024// 00000000C970: E05C1400 80959C36
	v_mfma_f32_16x16x32_fp8_fp8 v[196:199], a[202:203], a[10:11], v[196:199]// 00000000C978: D3F300C4 1F1215CA
	v_mfma_f32_16x16x32_fp8_fp8 v[196:199], a[204:205], a[12:13], v[196:199]// 00000000C980: D3F300C4 1F1219CC
	v_mfma_f32_16x16x32_fp8_fp8 v[196:199], a[206:207], a[14:15], v[196:199]// 00000000C988: D3F300C4 1F121DCE
	v_mfma_f32_16x16x32_fp8_fp8 v[208:211], a[208:209], a[8:9], v[208:211]// 00000000C990: D3F300D0 1F4211D0
	buffer_load_dwordx4 a[160:163], v55, s[84:87], 0 offen     // 00000000C998: E05C1000 8095A037
	v_mfma_f32_16x16x32_fp8_fp8 v[208:211], a[210:211], a[10:11], v[208:211]// 00000000C9A0: D3F300D0 1F4215D2
	v_mfma_f32_16x16x32_fp8_fp8 v[208:211], a[212:213], a[12:13], v[208:211]// 00000000C9A8: D3F300D0 1F4219D4
	v_mfma_f32_16x16x32_fp8_fp8 v[208:211], a[214:215], a[14:15], v[208:211]// 00000000C9B0: D3F300D0 1F421DD6
	v_mfma_f32_16x16x32_fp8_fp8 v[220:223], a[216:217], a[8:9], v[220:223]// 00000000C9B8: D3F300DC 1F7211D8
	buffer_load_dwordx4 a[164:167], v55, s[84:87], 0 offen offset:1024// 00000000C9C0: E05C1400 8095A437
	v_mfma_f32_16x16x32_fp8_fp8 v[220:223], a[218:219], a[10:11], v[220:223]// 00000000C9C8: D3F300DC 1F7215DA
	v_mfma_f32_16x16x32_fp8_fp8 v[220:223], a[220:221], a[12:13], v[220:223]// 00000000C9D0: D3F300DC 1F7219DC
	v_mfma_f32_16x16x32_fp8_fp8 v[220:223], a[222:223], a[14:15], v[220:223]// 00000000C9D8: D3F300DC 1F721DDE
	v_mfma_f32_16x16x32_fp8_fp8 v[232:235], a[224:225], a[8:9], v[232:235]// 00000000C9E0: D3F300E8 1FA211E0
	buffer_load_dwordx4 a[168:171], v56, s[84:87], 0 offen     // 00000000C9E8: E05C1000 8095A838
	v_mfma_f32_16x16x32_fp8_fp8 v[232:235], a[226:227], a[10:11], v[232:235]// 00000000C9F0: D3F300E8 1FA215E2
	v_mfma_f32_16x16x32_fp8_fp8 v[232:235], a[228:229], a[12:13], v[232:235]// 00000000C9F8: D3F300E8 1FA219E4
	v_mfma_f32_16x16x32_fp8_fp8 v[232:235], a[230:231], a[14:15], v[232:235]// 00000000CA00: D3F300E8 1FA21DE6
	v_mfma_f32_16x16x32_fp8_fp8 v[244:247], a[232:233], a[8:9], v[244:247]// 00000000CA08: D3F300F4 1FD211E8
	buffer_load_dwordx4 a[172:175], v56, s[84:87], 0 offen offset:1024// 00000000CA10: E05C1400 8095AC38
	v_mfma_f32_16x16x32_fp8_fp8 v[244:247], a[234:235], a[10:11], v[244:247]// 00000000CA18: D3F300F4 1FD215EA
	v_mfma_f32_16x16x32_fp8_fp8 v[244:247], a[236:237], a[12:13], v[244:247]// 00000000CA20: D3F300F4 1FD219EC
	v_mfma_f32_16x16x32_fp8_fp8 v[244:247], a[238:239], a[14:15], v[244:247]// 00000000CA28: D3F300F4 1FD21DEE
	v_mfma_f32_16x16x32_fp8_fp8 v[164:167], a[176:177], a[16:17], v[164:167]// 00000000CA30: D3F300A4 1E9221B0
	v_mfma_f32_16x16x32_fp8_fp8 v[164:167], a[178:179], a[18:19], v[164:167]// 00000000CA38: D3F300A4 1E9225B2
	v_mfma_f32_16x16x32_fp8_fp8 v[164:167], a[180:181], a[20:21], v[164:167]// 00000000CA40: D3F300A4 1E9229B4
	v_mfma_f32_16x16x32_fp8_fp8 v[164:167], a[182:183], a[22:23], v[164:167]// 00000000CA48: D3F300A4 1E922DB6
	v_mfma_f32_16x16x32_fp8_fp8 v[176:179], a[184:185], a[16:17], v[176:179]// 00000000CA50: D3F300B0 1EC221B8
	v_mfma_f32_16x16x32_fp8_fp8 v[176:179], a[186:187], a[18:19], v[176:179]// 00000000CA58: D3F300B0 1EC225BA
	v_mfma_f32_16x16x32_fp8_fp8 v[176:179], a[188:189], a[20:21], v[176:179]// 00000000CA60: D3F300B0 1EC229BC
	v_mfma_f32_16x16x32_fp8_fp8 v[176:179], a[190:191], a[22:23], v[176:179]// 00000000CA68: D3F300B0 1EC22DBE
	v_mfma_f32_16x16x32_fp8_fp8 v[188:191], a[192:193], a[16:17], v[188:191]// 00000000CA70: D3F300BC 1EF221C0
	v_mfma_f32_16x16x32_fp8_fp8 v[188:191], a[194:195], a[18:19], v[188:191]// 00000000CA78: D3F300BC 1EF225C2
	v_mfma_f32_16x16x32_fp8_fp8 v[188:191], a[196:197], a[20:21], v[188:191]// 00000000CA80: D3F300BC 1EF229C4
	v_mfma_f32_16x16x32_fp8_fp8 v[188:191], a[198:199], a[22:23], v[188:191]// 00000000CA88: D3F300BC 1EF22DC6
	v_mfma_f32_16x16x32_fp8_fp8 v[200:203], a[200:201], a[16:17], v[200:203]// 00000000CA90: D3F300C8 1F2221C8
	v_mfma_f32_16x16x32_fp8_fp8 v[200:203], a[202:203], a[18:19], v[200:203]// 00000000CA98: D3F300C8 1F2225CA
	v_mfma_f32_16x16x32_fp8_fp8 v[200:203], a[204:205], a[20:21], v[200:203]// 00000000CAA0: D3F300C8 1F2229CC
	v_mfma_f32_16x16x32_fp8_fp8 v[200:203], a[206:207], a[22:23], v[200:203]// 00000000CAA8: D3F300C8 1F222DCE
	v_mfma_f32_16x16x32_fp8_fp8 v[212:215], a[208:209], a[16:17], v[212:215]// 00000000CAB0: D3F300D4 1F5221D0
	v_mfma_f32_16x16x32_fp8_fp8 v[212:215], a[210:211], a[18:19], v[212:215]// 00000000CAB8: D3F300D4 1F5225D2
	v_mfma_f32_16x16x32_fp8_fp8 v[212:215], a[212:213], a[20:21], v[212:215]// 00000000CAC0: D3F300D4 1F5229D4
	v_mfma_f32_16x16x32_fp8_fp8 v[212:215], a[214:215], a[22:23], v[212:215]// 00000000CAC8: D3F300D4 1F522DD6
	v_mfma_f32_16x16x32_fp8_fp8 v[224:227], a[216:217], a[16:17], v[224:227]// 00000000CAD0: D3F300E0 1F8221D8
	v_mfma_f32_16x16x32_fp8_fp8 v[224:227], a[218:219], a[18:19], v[224:227]// 00000000CAD8: D3F300E0 1F8225DA
	v_mfma_f32_16x16x32_fp8_fp8 v[224:227], a[220:221], a[20:21], v[224:227]// 00000000CAE0: D3F300E0 1F8229DC
	v_mfma_f32_16x16x32_fp8_fp8 v[224:227], a[222:223], a[22:23], v[224:227]// 00000000CAE8: D3F300E0 1F822DDE
	v_mfma_f32_16x16x32_fp8_fp8 v[236:239], a[224:225], a[16:17], v[236:239]// 00000000CAF0: D3F300EC 1FB221E0
	s_add_u32 s60, 0x180, s80                                  // 00000000CAF8: 803C50FF 00000180
	s_cmp_lt_u32 s60, s81                                      // 00000000CB00: BF0A513C
	s_cselect_b32 s57, s57, 0                                  // 00000000CB04: 85398039
	v_mfma_f32_16x16x32_fp8_fp8 v[236:239], a[226:227], a[18:19], v[236:239]// 00000000CB08: D3F300EC 1FB225E2
	s_add_u32 s60, 0x100, s80                                  // 00000000CB10: 803C50FF 00000100
	s_cmp_lt_u32 s60, s81                                      // 00000000CB18: BF0A513C
	s_cselect_b32 s58, s58, 0                                  // 00000000CB1C: 853A803A
	v_mfma_f32_16x16x32_fp8_fp8 v[236:239], a[228:229], a[20:21], v[236:239]// 00000000CB20: D3F300EC 1FB229E4
	s_add_u32 s60, 0x100, s80                                  // 00000000CB28: 803C50FF 00000100
	s_cmp_lt_u32 s60, s81                                      // 00000000CB30: BF0A513C
	s_cselect_b32 s83, s83, 0                                  // 00000000CB34: 85538053
	v_mfma_f32_16x16x32_fp8_fp8 v[236:239], a[230:231], a[22:23], v[236:239]// 00000000CB38: D3F300EC 1FB22DE6
	s_add_u32 s24, s58, s24                                    // 00000000CB40: 8018183A
	s_addc_u32 s25, 0, s25                                     // 00000000CB44: 82191980
	v_mfma_f32_16x16x32_fp8_fp8 v[248:251], a[232:233], a[16:17], v[248:251]// 00000000CB48: D3F300F8 1FE221E8
	s_add_u32 s20, s57, s20                                    // 00000000CB50: 80141439
	s_addc_u32 s21, 0, s21                                     // 00000000CB54: 82151580
	v_mfma_f32_16x16x32_fp8_fp8 v[248:251], a[234:235], a[18:19], v[248:251]// 00000000CB58: D3F300F8 1FE225EA
	s_add_u32 s84, s83, s84                                    // 00000000CB60: 80545453
	s_addc_u32 s85, 0, s85                                     // 00000000CB64: 82555580
	v_mfma_f32_16x16x32_fp8_fp8 v[248:251], a[236:237], a[20:21], v[248:251]// 00000000CB68: D3F300F8 1FE229EC
	v_mfma_f32_16x16x32_fp8_fp8 v[248:251], a[238:239], a[22:23], v[248:251]// 00000000CB70: D3F300F8 1FE22DEE
	s_addk_i32 s80, 0x80                                       // 00000000CB78: B7500080
	s_cmp_lt_i32 s80, s81                                      // 00000000CB7C: BF045150
	s_cbranch_scc0 label_2E56                                  // 00000000CB80: BF8405F2
	s_waitcnt vmcnt(22) lgkmcnt(0)                             // 00000000CB84: BF8C4076
	v_mfma_f32_16x16x32_fp8_fp8 v[60:63], a[48:49], a[24:25], v[60:63]// 00000000CB88: D3F3003C 1CF23130
	buffer_load_dwordx4 a[176:179], v49, s[24:27], 0 offen     // 00000000CB90: E05C1000 8086B031
	v_mfma_f32_16x16x32_fp8_fp8 v[60:63], a[50:51], a[26:27], v[60:63]// 00000000CB98: D3F3003C 1CF23532
	v_mfma_f32_16x16x32_fp8_fp8 v[60:63], a[52:53], a[28:29], v[60:63]// 00000000CBA0: D3F3003C 1CF23934
	v_mfma_f32_16x16x32_fp8_fp8 v[60:63], a[54:55], a[30:31], v[60:63]// 00000000CBA8: D3F3003C 1CF23D36
	v_mfma_f32_16x16x32_fp8_fp8 v[72:75], a[56:57], a[24:25], v[72:75]// 00000000CBB0: D3F30048 1D223138
	buffer_load_dwordx4 a[180:183], v49, s[24:27], 0 offen offset:1024// 00000000CBB8: E05C1400 8086B431
	v_mfma_f32_16x16x32_fp8_fp8 v[72:75], a[58:59], a[26:27], v[72:75]// 00000000CBC0: D3F30048 1D22353A
	v_mfma_f32_16x16x32_fp8_fp8 v[72:75], a[60:61], a[28:29], v[72:75]// 00000000CBC8: D3F30048 1D22393C
	v_mfma_f32_16x16x32_fp8_fp8 v[72:75], a[62:63], a[30:31], v[72:75]// 00000000CBD0: D3F30048 1D223D3E
	v_mfma_f32_16x16x32_fp8_fp8 v[84:87], a[64:65], a[24:25], v[84:87]// 00000000CBD8: D3F30054 1D523140
	buffer_load_dwordx4 a[184:187], v50, s[24:27], 0 offen     // 00000000CBE0: E05C1000 8086B832
	v_mfma_f32_16x16x32_fp8_fp8 v[84:87], a[66:67], a[26:27], v[84:87]// 00000000CBE8: D3F30054 1D523542
	v_mfma_f32_16x16x32_fp8_fp8 v[84:87], a[68:69], a[28:29], v[84:87]// 00000000CBF0: D3F30054 1D523944
	v_mfma_f32_16x16x32_fp8_fp8 v[84:87], a[70:71], a[30:31], v[84:87]// 00000000CBF8: D3F30054 1D523D46
	v_mfma_f32_16x16x32_fp8_fp8 v[96:99], a[72:73], a[24:25], v[96:99]// 00000000CC00: D3F30060 1D823148
	buffer_load_dwordx4 a[188:191], v50, s[24:27], 0 offen offset:1024// 00000000CC08: E05C1400 8086BC32
	v_mfma_f32_16x16x32_fp8_fp8 v[96:99], a[74:75], a[26:27], v[96:99]// 00000000CC10: D3F30060 1D82354A
	v_mfma_f32_16x16x32_fp8_fp8 v[96:99], a[76:77], a[28:29], v[96:99]// 00000000CC18: D3F30060 1D82394C
	v_mfma_f32_16x16x32_fp8_fp8 v[96:99], a[78:79], a[30:31], v[96:99]// 00000000CC20: D3F30060 1D823D4E
	v_mfma_f32_16x16x32_fp8_fp8 v[108:111], a[80:81], a[24:25], v[108:111]// 00000000CC28: D3F3006C 1DB23150
	buffer_load_dwordx4 a[192:195], v51, s[24:27], 0 offen     // 00000000CC30: E05C1000 8086C033
	v_mfma_f32_16x16x32_fp8_fp8 v[108:111], a[82:83], a[26:27], v[108:111]// 00000000CC38: D3F3006C 1DB23552
	v_mfma_f32_16x16x32_fp8_fp8 v[108:111], a[84:85], a[28:29], v[108:111]// 00000000CC40: D3F3006C 1DB23954
	v_mfma_f32_16x16x32_fp8_fp8 v[108:111], a[86:87], a[30:31], v[108:111]// 00000000CC48: D3F3006C 1DB23D56
	v_mfma_f32_16x16x32_fp8_fp8 v[120:123], a[88:89], a[24:25], v[120:123]// 00000000CC50: D3F30078 1DE23158
	buffer_load_dwordx4 a[196:199], v51, s[24:27], 0 offen offset:1024// 00000000CC58: E05C1400 8086C433
	v_mfma_f32_16x16x32_fp8_fp8 v[120:123], a[90:91], a[26:27], v[120:123]// 00000000CC60: D3F30078 1DE2355A
	v_mfma_f32_16x16x32_fp8_fp8 v[120:123], a[92:93], a[28:29], v[120:123]// 00000000CC68: D3F30078 1DE2395C
	v_mfma_f32_16x16x32_fp8_fp8 v[120:123], a[94:95], a[30:31], v[120:123]// 00000000CC70: D3F30078 1DE23D5E
	v_mfma_f32_16x16x32_fp8_fp8 v[132:135], a[96:97], a[24:25], v[132:135]// 00000000CC78: D3F30084 1E123160
	buffer_load_dwordx4 a[200:203], v52, s[24:27], 0 offen     // 00000000CC80: E05C1000 8086C834
	v_mfma_f32_16x16x32_fp8_fp8 v[132:135], a[98:99], a[26:27], v[132:135]// 00000000CC88: D3F30084 1E123562
	v_mfma_f32_16x16x32_fp8_fp8 v[132:135], a[100:101], a[28:29], v[132:135]// 00000000CC90: D3F30084 1E123964
	v_mfma_f32_16x16x32_fp8_fp8 v[132:135], a[102:103], a[30:31], v[132:135]// 00000000CC98: D3F30084 1E123D66
	v_mfma_f32_16x16x32_fp8_fp8 v[144:147], a[104:105], a[24:25], v[144:147]// 00000000CCA0: D3F30090 1E423168
	buffer_load_dwordx4 a[204:207], v52, s[24:27], 0 offen offset:1024// 00000000CCA8: E05C1400 8086CC34
	v_mfma_f32_16x16x32_fp8_fp8 v[144:147], a[106:107], a[26:27], v[144:147]// 00000000CCB0: D3F30090 1E42356A
	v_mfma_f32_16x16x32_fp8_fp8 v[144:147], a[108:109], a[28:29], v[144:147]// 00000000CCB8: D3F30090 1E42396C
	v_mfma_f32_16x16x32_fp8_fp8 v[144:147], a[110:111], a[30:31], v[144:147]// 00000000CCC0: D3F30090 1E423D6E
	v_mfma_f32_16x16x32_fp8_fp8 v[64:67], a[48:49], a[32:33], v[64:67]// 00000000CCC8: D3F30040 1D024130
	buffer_load_dwordx4 a[208:211], v53, s[24:27], 0 offen     // 00000000CCD0: E05C1000 8086D035
	v_mfma_f32_16x16x32_fp8_fp8 v[64:67], a[50:51], a[34:35], v[64:67]// 00000000CCD8: D3F30040 1D024532
	v_mfma_f32_16x16x32_fp8_fp8 v[64:67], a[52:53], a[36:37], v[64:67]// 00000000CCE0: D3F30040 1D024934
	v_mfma_f32_16x16x32_fp8_fp8 v[64:67], a[54:55], a[38:39], v[64:67]// 00000000CCE8: D3F30040 1D024D36
	v_mfma_f32_16x16x32_fp8_fp8 v[76:79], a[56:57], a[32:33], v[76:79]// 00000000CCF0: D3F3004C 1D324138
	buffer_load_dwordx4 a[212:215], v53, s[24:27], 0 offen offset:1024// 00000000CCF8: E05C1400 8086D435
	v_mfma_f32_16x16x32_fp8_fp8 v[76:79], a[58:59], a[34:35], v[76:79]// 00000000CD00: D3F3004C 1D32453A
	v_mfma_f32_16x16x32_fp8_fp8 v[76:79], a[60:61], a[36:37], v[76:79]// 00000000CD08: D3F3004C 1D32493C
	v_mfma_f32_16x16x32_fp8_fp8 v[76:79], a[62:63], a[38:39], v[76:79]// 00000000CD10: D3F3004C 1D324D3E
	v_mfma_f32_16x16x32_fp8_fp8 v[88:91], a[64:65], a[32:33], v[88:91]// 00000000CD18: D3F30058 1D624140
	buffer_load_dwordx4 a[216:219], v54, s[24:27], 0 offen     // 00000000CD20: E05C1000 8086D836
	v_mfma_f32_16x16x32_fp8_fp8 v[88:91], a[66:67], a[34:35], v[88:91]// 00000000CD28: D3F30058 1D624542
	v_mfma_f32_16x16x32_fp8_fp8 v[88:91], a[68:69], a[36:37], v[88:91]// 00000000CD30: D3F30058 1D624944
	v_mfma_f32_16x16x32_fp8_fp8 v[88:91], a[70:71], a[38:39], v[88:91]// 00000000CD38: D3F30058 1D624D46
	v_mfma_f32_16x16x32_fp8_fp8 v[100:103], a[72:73], a[32:33], v[100:103]// 00000000CD40: D3F30064 1D924148
	buffer_load_dwordx4 a[220:223], v54, s[24:27], 0 offen offset:1024// 00000000CD48: E05C1400 8086DC36
	v_mfma_f32_16x16x32_fp8_fp8 v[100:103], a[74:75], a[34:35], v[100:103]// 00000000CD50: D3F30064 1D92454A
	v_mfma_f32_16x16x32_fp8_fp8 v[100:103], a[76:77], a[36:37], v[100:103]// 00000000CD58: D3F30064 1D92494C
	v_mfma_f32_16x16x32_fp8_fp8 v[100:103], a[78:79], a[38:39], v[100:103]// 00000000CD60: D3F30064 1D924D4E
	v_mfma_f32_16x16x32_fp8_fp8 v[112:115], a[80:81], a[32:33], v[112:115]// 00000000CD68: D3F30070 1DC24150
	buffer_load_dwordx4 a[224:227], v55, s[24:27], 0 offen     // 00000000CD70: E05C1000 8086E037
	v_mfma_f32_16x16x32_fp8_fp8 v[112:115], a[82:83], a[34:35], v[112:115]// 00000000CD78: D3F30070 1DC24552
	v_mfma_f32_16x16x32_fp8_fp8 v[112:115], a[84:85], a[36:37], v[112:115]// 00000000CD80: D3F30070 1DC24954
	v_mfma_f32_16x16x32_fp8_fp8 v[112:115], a[86:87], a[38:39], v[112:115]// 00000000CD88: D3F30070 1DC24D56
	v_mfma_f32_16x16x32_fp8_fp8 v[124:127], a[88:89], a[32:33], v[124:127]// 00000000CD90: D3F3007C 1DF24158
	buffer_load_dwordx4 a[228:231], v55, s[24:27], 0 offen offset:1024// 00000000CD98: E05C1400 8086E437
	v_mfma_f32_16x16x32_fp8_fp8 v[124:127], a[90:91], a[34:35], v[124:127]// 00000000CDA0: D3F3007C 1DF2455A
	v_mfma_f32_16x16x32_fp8_fp8 v[124:127], a[92:93], a[36:37], v[124:127]// 00000000CDA8: D3F3007C 1DF2495C
	v_mfma_f32_16x16x32_fp8_fp8 v[124:127], a[94:95], a[38:39], v[124:127]// 00000000CDB0: D3F3007C 1DF24D5E
	v_mfma_f32_16x16x32_fp8_fp8 v[136:139], a[96:97], a[32:33], v[136:139]// 00000000CDB8: D3F30088 1E224160
	buffer_load_dwordx4 a[232:235], v56, s[24:27], 0 offen     // 00000000CDC0: E05C1000 8086E838
	v_mfma_f32_16x16x32_fp8_fp8 v[136:139], a[98:99], a[34:35], v[136:139]// 00000000CDC8: D3F30088 1E224562
	v_mfma_f32_16x16x32_fp8_fp8 v[136:139], a[100:101], a[36:37], v[136:139]// 00000000CDD0: D3F30088 1E224964
	v_mfma_f32_16x16x32_fp8_fp8 v[136:139], a[102:103], a[38:39], v[136:139]// 00000000CDD8: D3F30088 1E224D66
	v_mfma_f32_16x16x32_fp8_fp8 v[148:151], a[104:105], a[32:33], v[148:151]// 00000000CDE0: D3F30094 1E524168
	buffer_load_dwordx4 a[236:239], v56, s[24:27], 0 offen offset:1024// 00000000CDE8: E05C1400 8086EC38
	buffer_load_dword v43, s[20:23], 0 offen lds               // 00000000CDF0: E0511000 8005002B
	s_add_u32 m0, 0x100, s50                                   // 00000000CDF8: 807C32FF 00000100
	v_mfma_f32_16x16x32_fp8_fp8 v[148:151], a[106:107], a[34:35], v[148:151]// 00000000CE00: D3F30094 1E52456A
	v_mfma_f32_16x16x32_fp8_fp8 v[148:151], a[108:109], a[36:37], v[148:151]// 00000000CE08: D3F30094 1E52496C
	buffer_load_dword v44, s[20:23], 0 offen lds               // 00000000CE10: E0511000 8005002C
	s_add_u32 m0, 0x200, s50                                   // 00000000CE18: 807C32FF 00000200
	v_mfma_f32_16x16x32_fp8_fp8 v[148:151], a[110:111], a[38:39], v[148:151]// 00000000CE20: D3F30094 1E524D6E
	v_mfma_f32_16x16x32_fp8_fp8 v[68:71], a[48:49], a[40:41], v[68:71]// 00000000CE28: D3F30044 1D125130
	buffer_load_dword v45, s[20:23], 0 offen lds               // 00000000CE30: E0511000 8005002D
	s_add_u32 m0, 0x300, s50                                   // 00000000CE38: 807C32FF 00000300
	v_mfma_f32_16x16x32_fp8_fp8 v[68:71], a[50:51], a[42:43], v[68:71]// 00000000CE40: D3F30044 1D125532
	v_mfma_f32_16x16x32_fp8_fp8 v[68:71], a[52:53], a[44:45], v[68:71]// 00000000CE48: D3F30044 1D125934
	buffer_load_dword v46, s[20:23], 0 offen lds               // 00000000CE50: E0511000 8005002E
	s_add_u32 m0, 0x400, s50                                   // 00000000CE58: 807C32FF 00000400
	v_mfma_f32_16x16x32_fp8_fp8 v[68:71], a[54:55], a[46:47], v[68:71]// 00000000CE60: D3F30044 1D125D36
	v_mfma_f32_16x16x32_fp8_fp8 v[80:83], a[56:57], a[40:41], v[80:83]// 00000000CE68: D3F30050 1D425138
	buffer_load_dword v47, s[20:23], 0 offen lds               // 00000000CE70: E0511000 8005002F
	s_add_u32 m0, 0x500, s50                                   // 00000000CE78: 807C32FF 00000500
	v_mfma_f32_16x16x32_fp8_fp8 v[80:83], a[58:59], a[42:43], v[80:83]// 00000000CE80: D3F30050 1D42553A
	v_mfma_f32_16x16x32_fp8_fp8 v[80:83], a[60:61], a[44:45], v[80:83]// 00000000CE88: D3F30050 1D42593C
	buffer_load_dword v48, s[20:23], 0 offen lds               // 00000000CE90: E0511000 80050030
	s_add_u32 m0, 0, s48                                       // 00000000CE98: 807C3080
	v_mfma_f32_16x16x32_fp8_fp8 v[80:83], a[62:63], a[46:47], v[80:83]// 00000000CE9C: D3F30050 1D425D3E
	v_mfma_f32_16x16x32_fp8_fp8 v[92:95], a[64:65], a[40:41], v[92:95]// 00000000CEA4: D3F3005C 1D725140
	v_mfma_f32_16x16x32_fp8_fp8 v[92:95], a[66:67], a[42:43], v[92:95]// 00000000CEAC: D3F3005C 1D725542
	v_mfma_f32_16x16x32_fp8_fp8 v[92:95], a[68:69], a[44:45], v[92:95]// 00000000CEB4: D3F3005C 1D725944
	v_mfma_f32_16x16x32_fp8_fp8 v[92:95], a[70:71], a[46:47], v[92:95]// 00000000CEBC: D3F3005C 1D725D46
	v_mfma_f32_16x16x32_fp8_fp8 v[104:107], a[72:73], a[40:41], v[104:107]// 00000000CEC4: D3F30068 1DA25148
	v_mfma_f32_16x16x32_fp8_fp8 v[104:107], a[74:75], a[42:43], v[104:107]// 00000000CECC: D3F30068 1DA2554A
	v_mfma_f32_16x16x32_fp8_fp8 v[104:107], a[76:77], a[44:45], v[104:107]// 00000000CED4: D3F30068 1DA2594C
	v_mfma_f32_16x16x32_fp8_fp8 v[104:107], a[78:79], a[46:47], v[104:107]// 00000000CEDC: D3F30068 1DA25D4E
	v_mfma_f32_16x16x32_fp8_fp8 v[116:119], a[80:81], a[40:41], v[116:119]// 00000000CEE4: D3F30074 1DD25150
	v_mfma_f32_16x16x32_fp8_fp8 v[116:119], a[82:83], a[42:43], v[116:119]// 00000000CEEC: D3F30074 1DD25552
	v_mfma_f32_16x16x32_fp8_fp8 v[116:119], a[84:85], a[44:45], v[116:119]// 00000000CEF4: D3F30074 1DD25954
	v_mfma_f32_16x16x32_fp8_fp8 v[116:119], a[86:87], a[46:47], v[116:119]// 00000000CEFC: D3F30074 1DD25D56
	v_mfma_f32_16x16x32_fp8_fp8 v[128:131], a[88:89], a[40:41], v[128:131]// 00000000CF04: D3F30080 1E025158
	v_mfma_f32_16x16x32_fp8_fp8 v[128:131], a[90:91], a[42:43], v[128:131]// 00000000CF0C: D3F30080 1E02555A
	v_mfma_f32_16x16x32_fp8_fp8 v[128:131], a[92:93], a[44:45], v[128:131]// 00000000CF14: D3F30080 1E02595C
	v_mfma_f32_16x16x32_fp8_fp8 v[128:131], a[94:95], a[46:47], v[128:131]// 00000000CF1C: D3F30080 1E025D5E
	v_mfma_f32_16x16x32_fp8_fp8 v[140:143], a[96:97], a[40:41], v[140:143]// 00000000CF24: D3F3008C 1E325160
	v_mfma_f32_16x16x32_fp8_fp8 v[140:143], a[98:99], a[42:43], v[140:143]// 00000000CF2C: D3F3008C 1E325562
	v_mfma_f32_16x16x32_fp8_fp8 v[140:143], a[100:101], a[44:45], v[140:143]// 00000000CF34: D3F3008C 1E325964
	v_mfma_f32_16x16x32_fp8_fp8 v[140:143], a[102:103], a[46:47], v[140:143]// 00000000CF3C: D3F3008C 1E325D66
	v_mfma_f32_16x16x32_fp8_fp8 v[152:155], a[104:105], a[40:41], v[152:155]// 00000000CF44: D3F30098 1E625168
	v_mfma_f32_16x16x32_fp8_fp8 v[152:155], a[106:107], a[42:43], v[152:155]// 00000000CF4C: D3F30098 1E62556A
	v_mfma_f32_16x16x32_fp8_fp8 v[152:155], a[108:109], a[44:45], v[152:155]// 00000000CF54: D3F30098 1E62596C
	v_mfma_f32_16x16x32_fp8_fp8 v[152:155], a[110:111], a[46:47], v[152:155]// 00000000CF5C: D3F30098 1E625D6E
	s_waitcnt vmcnt(22)                                        // 00000000CF64: BF8C4F76
	s_barrier                                                  // 00000000CF68: BF8A0000
	v_mfma_f32_16x16x32_fp8_fp8 v[156:159], a[112:113], a[24:25], v[156:159]// 00000000CF6C: D3F3009C 1E723170
	buffer_load_dwordx4 a[48:51], v49, s[84:87], 0 offen       // 00000000CF74: E05C1000 80953031
	v_mfma_f32_16x16x32_fp8_fp8 v[156:159], a[114:115], a[26:27], v[156:159]// 00000000CF7C: D3F3009C 1E723572
	v_mfma_f32_16x16x32_fp8_fp8 v[156:159], a[116:117], a[28:29], v[156:159]// 00000000CF84: D3F3009C 1E723974
	ds_read_b128 a[0:3], v2 offset:6272                        // 00000000CF8C: DBFE1880 00000002
	ds_read_b128 a[4:7], v2 offset:6336                        // 00000000CF94: DBFE18C0 04000002
	v_mfma_f32_16x16x32_fp8_fp8 v[156:159], a[118:119], a[30:31], v[156:159]// 00000000CF9C: D3F3009C 1E723D76
	v_mfma_f32_16x16x32_fp8_fp8 v[168:171], a[120:121], a[24:25], v[168:171]// 00000000CFA4: D3F300A8 1EA23178
	buffer_load_dwordx4 a[52:55], v49, s[84:87], 0 offen offset:1024// 00000000CFAC: E05C1400 80953431
	v_mfma_f32_16x16x32_fp8_fp8 v[168:171], a[122:123], a[26:27], v[168:171]// 00000000CFB4: D3F300A8 1EA2357A
	v_mfma_f32_16x16x32_fp8_fp8 v[168:171], a[124:125], a[28:29], v[168:171]// 00000000CFBC: D3F300A8 1EA2397C
	ds_read_b128 a[8:11], v2 offset:6784                       // 00000000CFC4: DBFE1A80 08000002
	ds_read_b128 a[12:15], v2 offset:6848                      // 00000000CFCC: DBFE1AC0 0C000002
	v_mfma_f32_16x16x32_fp8_fp8 v[168:171], a[126:127], a[30:31], v[168:171]// 00000000CFD4: D3F300A8 1EA23D7E
	v_mfma_f32_16x16x32_fp8_fp8 v[180:183], a[128:129], a[24:25], v[180:183]// 00000000CFDC: D3F300B4 1ED23180
	buffer_load_dwordx4 a[56:59], v50, s[84:87], 0 offen       // 00000000CFE4: E05C1000 80953832
	v_mfma_f32_16x16x32_fp8_fp8 v[180:183], a[130:131], a[26:27], v[180:183]// 00000000CFEC: D3F300B4 1ED23582
	v_mfma_f32_16x16x32_fp8_fp8 v[180:183], a[132:133], a[28:29], v[180:183]// 00000000CFF4: D3F300B4 1ED23984
	ds_read_b128 a[16:19], v2 offset:7296                      // 00000000CFFC: DBFE1C80 10000002
	ds_read_b128 a[20:23], v2 offset:7360                      // 00000000D004: DBFE1CC0 14000002
	v_mfma_f32_16x16x32_fp8_fp8 v[180:183], a[134:135], a[30:31], v[180:183]// 00000000D00C: D3F300B4 1ED23D86
	v_mfma_f32_16x16x32_fp8_fp8 v[192:195], a[136:137], a[24:25], v[192:195]// 00000000D014: D3F300C0 1F023188
	buffer_load_dwordx4 a[60:63], v50, s[84:87], 0 offen offset:1024// 00000000D01C: E05C1400 80953C32
	v_mfma_f32_16x16x32_fp8_fp8 v[192:195], a[138:139], a[26:27], v[192:195]// 00000000D024: D3F300C0 1F02358A
	v_mfma_f32_16x16x32_fp8_fp8 v[192:195], a[140:141], a[28:29], v[192:195]// 00000000D02C: D3F300C0 1F02398C
	v_mfma_f32_16x16x32_fp8_fp8 v[192:195], a[142:143], a[30:31], v[192:195]// 00000000D034: D3F300C0 1F023D8E
	v_mfma_f32_16x16x32_fp8_fp8 v[204:207], a[144:145], a[24:25], v[204:207]// 00000000D03C: D3F300CC 1F323190
	buffer_load_dwordx4 a[64:67], v51, s[84:87], 0 offen       // 00000000D044: E05C1000 80954033
	v_mfma_f32_16x16x32_fp8_fp8 v[204:207], a[146:147], a[26:27], v[204:207]// 00000000D04C: D3F300CC 1F323592
	v_mfma_f32_16x16x32_fp8_fp8 v[204:207], a[148:149], a[28:29], v[204:207]// 00000000D054: D3F300CC 1F323994
	v_mfma_f32_16x16x32_fp8_fp8 v[204:207], a[150:151], a[30:31], v[204:207]// 00000000D05C: D3F300CC 1F323D96
	v_mfma_f32_16x16x32_fp8_fp8 v[216:219], a[152:153], a[24:25], v[216:219]// 00000000D064: D3F300D8 1F623198
	buffer_load_dwordx4 a[68:71], v51, s[84:87], 0 offen offset:1024// 00000000D06C: E05C1400 80954433
	v_mfma_f32_16x16x32_fp8_fp8 v[216:219], a[154:155], a[26:27], v[216:219]// 00000000D074: D3F300D8 1F62359A
	v_mfma_f32_16x16x32_fp8_fp8 v[216:219], a[156:157], a[28:29], v[216:219]// 00000000D07C: D3F300D8 1F62399C
	v_mfma_f32_16x16x32_fp8_fp8 v[216:219], a[158:159], a[30:31], v[216:219]// 00000000D084: D3F300D8 1F623D9E
	v_mfma_f32_16x16x32_fp8_fp8 v[228:231], a[160:161], a[24:25], v[228:231]// 00000000D08C: D3F300E4 1F9231A0
	buffer_load_dwordx4 a[72:75], v52, s[84:87], 0 offen       // 00000000D094: E05C1000 80954834
	v_mfma_f32_16x16x32_fp8_fp8 v[228:231], a[162:163], a[26:27], v[228:231]// 00000000D09C: D3F300E4 1F9235A2
	v_mfma_f32_16x16x32_fp8_fp8 v[228:231], a[164:165], a[28:29], v[228:231]// 00000000D0A4: D3F300E4 1F9239A4
	v_mfma_f32_16x16x32_fp8_fp8 v[228:231], a[166:167], a[30:31], v[228:231]// 00000000D0AC: D3F300E4 1F923DA6
	v_mfma_f32_16x16x32_fp8_fp8 v[240:243], a[168:169], a[24:25], v[240:243]// 00000000D0B4: D3F300F0 1FC231A8
	buffer_load_dwordx4 a[76:79], v52, s[84:87], 0 offen offset:1024// 00000000D0BC: E05C1400 80954C34
	v_mfma_f32_16x16x32_fp8_fp8 v[240:243], a[170:171], a[26:27], v[240:243]// 00000000D0C4: D3F300F0 1FC235AA
	v_mfma_f32_16x16x32_fp8_fp8 v[240:243], a[172:173], a[28:29], v[240:243]// 00000000D0CC: D3F300F0 1FC239AC
	v_mfma_f32_16x16x32_fp8_fp8 v[240:243], a[174:175], a[30:31], v[240:243]// 00000000D0D4: D3F300F0 1FC23DAE
	v_mfma_f32_16x16x32_fp8_fp8 v[160:163], a[112:113], a[32:33], v[160:163]// 00000000D0DC: D3F300A0 1E824170
	buffer_load_dwordx4 a[80:83], v53, s[84:87], 0 offen       // 00000000D0E4: E05C1000 80955035
	v_mfma_f32_16x16x32_fp8_fp8 v[160:163], a[114:115], a[34:35], v[160:163]// 00000000D0EC: D3F300A0 1E824572
	v_mfma_f32_16x16x32_fp8_fp8 v[160:163], a[116:117], a[36:37], v[160:163]// 00000000D0F4: D3F300A0 1E824974
	v_mfma_f32_16x16x32_fp8_fp8 v[160:163], a[118:119], a[38:39], v[160:163]// 00000000D0FC: D3F300A0 1E824D76
	v_mfma_f32_16x16x32_fp8_fp8 v[172:175], a[120:121], a[32:33], v[172:175]// 00000000D104: D3F300AC 1EB24178
	buffer_load_dwordx4 a[84:87], v53, s[84:87], 0 offen offset:1024// 00000000D10C: E05C1400 80955435
	v_mfma_f32_16x16x32_fp8_fp8 v[172:175], a[122:123], a[34:35], v[172:175]// 00000000D114: D3F300AC 1EB2457A
	v_mfma_f32_16x16x32_fp8_fp8 v[172:175], a[124:125], a[36:37], v[172:175]// 00000000D11C: D3F300AC 1EB2497C
	v_mfma_f32_16x16x32_fp8_fp8 v[172:175], a[126:127], a[38:39], v[172:175]// 00000000D124: D3F300AC 1EB24D7E
	v_mfma_f32_16x16x32_fp8_fp8 v[184:187], a[128:129], a[32:33], v[184:187]// 00000000D12C: D3F300B8 1EE24180
	buffer_load_dwordx4 a[88:91], v54, s[84:87], 0 offen       // 00000000D134: E05C1000 80955836
	v_mfma_f32_16x16x32_fp8_fp8 v[184:187], a[130:131], a[34:35], v[184:187]// 00000000D13C: D3F300B8 1EE24582
	v_mfma_f32_16x16x32_fp8_fp8 v[184:187], a[132:133], a[36:37], v[184:187]// 00000000D144: D3F300B8 1EE24984
	v_mfma_f32_16x16x32_fp8_fp8 v[184:187], a[134:135], a[38:39], v[184:187]// 00000000D14C: D3F300B8 1EE24D86
	v_mfma_f32_16x16x32_fp8_fp8 v[196:199], a[136:137], a[32:33], v[196:199]// 00000000D154: D3F300C4 1F124188
	buffer_load_dwordx4 a[92:95], v54, s[84:87], 0 offen offset:1024// 00000000D15C: E05C1400 80955C36
	v_mfma_f32_16x16x32_fp8_fp8 v[196:199], a[138:139], a[34:35], v[196:199]// 00000000D164: D3F300C4 1F12458A
	v_mfma_f32_16x16x32_fp8_fp8 v[196:199], a[140:141], a[36:37], v[196:199]// 00000000D16C: D3F300C4 1F12498C
	v_mfma_f32_16x16x32_fp8_fp8 v[196:199], a[142:143], a[38:39], v[196:199]// 00000000D174: D3F300C4 1F124D8E
	v_mfma_f32_16x16x32_fp8_fp8 v[208:211], a[144:145], a[32:33], v[208:211]// 00000000D17C: D3F300D0 1F424190
	buffer_load_dwordx4 a[96:99], v55, s[84:87], 0 offen       // 00000000D184: E05C1000 80956037
	v_mfma_f32_16x16x32_fp8_fp8 v[208:211], a[146:147], a[34:35], v[208:211]// 00000000D18C: D3F300D0 1F424592
	v_mfma_f32_16x16x32_fp8_fp8 v[208:211], a[148:149], a[36:37], v[208:211]// 00000000D194: D3F300D0 1F424994
	v_mfma_f32_16x16x32_fp8_fp8 v[208:211], a[150:151], a[38:39], v[208:211]// 00000000D19C: D3F300D0 1F424D96
	v_mfma_f32_16x16x32_fp8_fp8 v[220:223], a[152:153], a[32:33], v[220:223]// 00000000D1A4: D3F300DC 1F724198
	buffer_load_dwordx4 a[100:103], v55, s[84:87], 0 offen offset:1024// 00000000D1AC: E05C1400 80956437
	v_mfma_f32_16x16x32_fp8_fp8 v[220:223], a[154:155], a[34:35], v[220:223]// 00000000D1B4: D3F300DC 1F72459A
	v_mfma_f32_16x16x32_fp8_fp8 v[220:223], a[156:157], a[36:37], v[220:223]// 00000000D1BC: D3F300DC 1F72499C
	v_mfma_f32_16x16x32_fp8_fp8 v[220:223], a[158:159], a[38:39], v[220:223]// 00000000D1C4: D3F300DC 1F724D9E
	v_mfma_f32_16x16x32_fp8_fp8 v[232:235], a[160:161], a[32:33], v[232:235]// 00000000D1CC: D3F300E8 1FA241A0
	buffer_load_dwordx4 a[104:107], v56, s[84:87], 0 offen     // 00000000D1D4: E05C1000 80956838
	v_mfma_f32_16x16x32_fp8_fp8 v[232:235], a[162:163], a[34:35], v[232:235]// 00000000D1DC: D3F300E8 1FA245A2
	v_mfma_f32_16x16x32_fp8_fp8 v[232:235], a[164:165], a[36:37], v[232:235]// 00000000D1E4: D3F300E8 1FA249A4
	v_mfma_f32_16x16x32_fp8_fp8 v[232:235], a[166:167], a[38:39], v[232:235]// 00000000D1EC: D3F300E8 1FA24DA6
	v_mfma_f32_16x16x32_fp8_fp8 v[244:247], a[168:169], a[32:33], v[244:247]// 00000000D1F4: D3F300F4 1FD241A8
	buffer_load_dwordx4 a[108:111], v56, s[84:87], 0 offen offset:1024// 00000000D1FC: E05C1400 80956C38
	v_mfma_f32_16x16x32_fp8_fp8 v[244:247], a[170:171], a[34:35], v[244:247]// 00000000D204: D3F300F4 1FD245AA
	v_mfma_f32_16x16x32_fp8_fp8 v[244:247], a[172:173], a[36:37], v[244:247]// 00000000D20C: D3F300F4 1FD249AC
	v_mfma_f32_16x16x32_fp8_fp8 v[244:247], a[174:175], a[38:39], v[244:247]// 00000000D214: D3F300F4 1FD24DAE
	v_mfma_f32_16x16x32_fp8_fp8 v[164:167], a[112:113], a[40:41], v[164:167]// 00000000D21C: D3F300A4 1E925170
	v_mfma_f32_16x16x32_fp8_fp8 v[164:167], a[114:115], a[42:43], v[164:167]// 00000000D224: D3F300A4 1E925572
	v_mfma_f32_16x16x32_fp8_fp8 v[164:167], a[116:117], a[44:45], v[164:167]// 00000000D22C: D3F300A4 1E925974
	v_mfma_f32_16x16x32_fp8_fp8 v[164:167], a[118:119], a[46:47], v[164:167]// 00000000D234: D3F300A4 1E925D76
	v_mfma_f32_16x16x32_fp8_fp8 v[176:179], a[120:121], a[40:41], v[176:179]// 00000000D23C: D3F300B0 1EC25178
	v_mfma_f32_16x16x32_fp8_fp8 v[176:179], a[122:123], a[42:43], v[176:179]// 00000000D244: D3F300B0 1EC2557A
	v_mfma_f32_16x16x32_fp8_fp8 v[176:179], a[124:125], a[44:45], v[176:179]// 00000000D24C: D3F300B0 1EC2597C
	v_mfma_f32_16x16x32_fp8_fp8 v[176:179], a[126:127], a[46:47], v[176:179]// 00000000D254: D3F300B0 1EC25D7E
	v_mfma_f32_16x16x32_fp8_fp8 v[188:191], a[128:129], a[40:41], v[188:191]// 00000000D25C: D3F300BC 1EF25180
	v_mfma_f32_16x16x32_fp8_fp8 v[188:191], a[130:131], a[42:43], v[188:191]// 00000000D264: D3F300BC 1EF25582
	v_mfma_f32_16x16x32_fp8_fp8 v[188:191], a[132:133], a[44:45], v[188:191]// 00000000D26C: D3F300BC 1EF25984
	v_mfma_f32_16x16x32_fp8_fp8 v[188:191], a[134:135], a[46:47], v[188:191]// 00000000D274: D3F300BC 1EF25D86
	v_mfma_f32_16x16x32_fp8_fp8 v[200:203], a[136:137], a[40:41], v[200:203]// 00000000D27C: D3F300C8 1F225188
	v_mfma_f32_16x16x32_fp8_fp8 v[200:203], a[138:139], a[42:43], v[200:203]// 00000000D284: D3F300C8 1F22558A
	v_mfma_f32_16x16x32_fp8_fp8 v[200:203], a[140:141], a[44:45], v[200:203]// 00000000D28C: D3F300C8 1F22598C
	v_mfma_f32_16x16x32_fp8_fp8 v[200:203], a[142:143], a[46:47], v[200:203]// 00000000D294: D3F300C8 1F225D8E
	v_mfma_f32_16x16x32_fp8_fp8 v[212:215], a[144:145], a[40:41], v[212:215]// 00000000D29C: D3F300D4 1F525190
	v_mfma_f32_16x16x32_fp8_fp8 v[212:215], a[146:147], a[42:43], v[212:215]// 00000000D2A4: D3F300D4 1F525592
	v_mfma_f32_16x16x32_fp8_fp8 v[212:215], a[148:149], a[44:45], v[212:215]// 00000000D2AC: D3F300D4 1F525994
	v_mfma_f32_16x16x32_fp8_fp8 v[212:215], a[150:151], a[46:47], v[212:215]// 00000000D2B4: D3F300D4 1F525D96
	v_mfma_f32_16x16x32_fp8_fp8 v[224:227], a[152:153], a[40:41], v[224:227]// 00000000D2BC: D3F300E0 1F825198
	v_mfma_f32_16x16x32_fp8_fp8 v[224:227], a[154:155], a[42:43], v[224:227]// 00000000D2C4: D3F300E0 1F82559A
	v_mfma_f32_16x16x32_fp8_fp8 v[224:227], a[156:157], a[44:45], v[224:227]// 00000000D2CC: D3F300E0 1F82599C
	v_mfma_f32_16x16x32_fp8_fp8 v[224:227], a[158:159], a[46:47], v[224:227]// 00000000D2D4: D3F300E0 1F825D9E
	v_mfma_f32_16x16x32_fp8_fp8 v[236:239], a[160:161], a[40:41], v[236:239]// 00000000D2DC: D3F300EC 1FB251A0
	s_add_u32 s60, 0x180, s80                                  // 00000000D2E4: 803C50FF 00000180
	s_cmp_lt_u32 s60, s81                                      // 00000000D2EC: BF0A513C
	s_cselect_b32 s57, s57, 0                                  // 00000000D2F0: 85398039
	v_mfma_f32_16x16x32_fp8_fp8 v[236:239], a[162:163], a[42:43], v[236:239]// 00000000D2F4: D3F300EC 1FB255A2
	s_add_u32 s60, 0x100, s80                                  // 00000000D2FC: 803C50FF 00000100
	s_cmp_lt_u32 s60, s81                                      // 00000000D304: BF0A513C
	s_cselect_b32 s58, s58, 0                                  // 00000000D308: 853A803A
	v_mfma_f32_16x16x32_fp8_fp8 v[236:239], a[164:165], a[44:45], v[236:239]// 00000000D30C: D3F300EC 1FB259A4
	s_add_u32 s60, 0x100, s80                                  // 00000000D314: 803C50FF 00000100
	s_cmp_lt_u32 s60, s81                                      // 00000000D31C: BF0A513C
	s_cselect_b32 s83, s83, 0                                  // 00000000D320: 85538053
	v_mfma_f32_16x16x32_fp8_fp8 v[236:239], a[166:167], a[46:47], v[236:239]// 00000000D324: D3F300EC 1FB25DA6
	s_add_u32 s24, s58, s24                                    // 00000000D32C: 8018183A
	s_addc_u32 s25, 0, s25                                     // 00000000D330: 82191980
	v_mfma_f32_16x16x32_fp8_fp8 v[248:251], a[168:169], a[40:41], v[248:251]// 00000000D334: D3F300F8 1FE251A8
	s_add_u32 s20, s57, s20                                    // 00000000D33C: 80141439
	s_addc_u32 s21, 0, s21                                     // 00000000D340: 82151580
	v_mfma_f32_16x16x32_fp8_fp8 v[248:251], a[170:171], a[42:43], v[248:251]// 00000000D344: D3F300F8 1FE255AA
	s_add_u32 s84, s83, s84                                    // 00000000D34C: 80545453
	s_addc_u32 s85, 0, s85                                     // 00000000D350: 82555580
	v_mfma_f32_16x16x32_fp8_fp8 v[248:251], a[172:173], a[44:45], v[248:251]// 00000000D354: D3F300F8 1FE259AC
	v_mfma_f32_16x16x32_fp8_fp8 v[248:251], a[174:175], a[46:47], v[248:251]// 00000000D35C: D3F300F8 1FE25DAE
	s_addk_i32 s80, 0x80                                       // 00000000D364: B7500080
	s_cmp_lt_i32 s80, s81                                      // 00000000D368: BF045150
	s_cbranch_scc0 label_2E56                                  // 00000000D36C: BF8403F7
	s_waitcnt vmcnt(22) lgkmcnt(0)                             // 00000000D370: BF8C4076
	v_mfma_f32_16x16x32_fp8_fp8 v[60:63], a[176:177], a[0:1], v[60:63]// 00000000D374: D3F3003C 1CF201B0
	buffer_load_dwordx4 a[112:115], v49, s[24:27], 0 offen     // 00000000D37C: E05C1000 80867031
	v_mfma_f32_16x16x32_fp8_fp8 v[60:63], a[178:179], a[2:3], v[60:63]// 00000000D384: D3F3003C 1CF205B2
	v_mfma_f32_16x16x32_fp8_fp8 v[60:63], a[180:181], a[4:5], v[60:63]// 00000000D38C: D3F3003C 1CF209B4
	v_mfma_f32_16x16x32_fp8_fp8 v[60:63], a[182:183], a[6:7], v[60:63]// 00000000D394: D3F3003C 1CF20DB6
	v_mfma_f32_16x16x32_fp8_fp8 v[72:75], a[184:185], a[0:1], v[72:75]// 00000000D39C: D3F30048 1D2201B8
	buffer_load_dwordx4 a[116:119], v49, s[24:27], 0 offen offset:1024// 00000000D3A4: E05C1400 80867431
	v_mfma_f32_16x16x32_fp8_fp8 v[72:75], a[186:187], a[2:3], v[72:75]// 00000000D3AC: D3F30048 1D2205BA
	v_mfma_f32_16x16x32_fp8_fp8 v[72:75], a[188:189], a[4:5], v[72:75]// 00000000D3B4: D3F30048 1D2209BC
	v_mfma_f32_16x16x32_fp8_fp8 v[72:75], a[190:191], a[6:7], v[72:75]// 00000000D3BC: D3F30048 1D220DBE
	v_mfma_f32_16x16x32_fp8_fp8 v[84:87], a[192:193], a[0:1], v[84:87]// 00000000D3C4: D3F30054 1D5201C0
	buffer_load_dwordx4 a[120:123], v50, s[24:27], 0 offen     // 00000000D3CC: E05C1000 80867832
	v_mfma_f32_16x16x32_fp8_fp8 v[84:87], a[194:195], a[2:3], v[84:87]// 00000000D3D4: D3F30054 1D5205C2
	v_mfma_f32_16x16x32_fp8_fp8 v[84:87], a[196:197], a[4:5], v[84:87]// 00000000D3DC: D3F30054 1D5209C4
	v_mfma_f32_16x16x32_fp8_fp8 v[84:87], a[198:199], a[6:7], v[84:87]// 00000000D3E4: D3F30054 1D520DC6
	v_mfma_f32_16x16x32_fp8_fp8 v[96:99], a[200:201], a[0:1], v[96:99]// 00000000D3EC: D3F30060 1D8201C8
	buffer_load_dwordx4 a[124:127], v50, s[24:27], 0 offen offset:1024// 00000000D3F4: E05C1400 80867C32
	v_mfma_f32_16x16x32_fp8_fp8 v[96:99], a[202:203], a[2:3], v[96:99]// 00000000D3FC: D3F30060 1D8205CA
	v_mfma_f32_16x16x32_fp8_fp8 v[96:99], a[204:205], a[4:5], v[96:99]// 00000000D404: D3F30060 1D8209CC
	v_mfma_f32_16x16x32_fp8_fp8 v[96:99], a[206:207], a[6:7], v[96:99]// 00000000D40C: D3F30060 1D820DCE
	v_mfma_f32_16x16x32_fp8_fp8 v[108:111], a[208:209], a[0:1], v[108:111]// 00000000D414: D3F3006C 1DB201D0
	buffer_load_dwordx4 a[128:131], v51, s[24:27], 0 offen     // 00000000D41C: E05C1000 80868033
	v_mfma_f32_16x16x32_fp8_fp8 v[108:111], a[210:211], a[2:3], v[108:111]// 00000000D424: D3F3006C 1DB205D2
	v_mfma_f32_16x16x32_fp8_fp8 v[108:111], a[212:213], a[4:5], v[108:111]// 00000000D42C: D3F3006C 1DB209D4
	v_mfma_f32_16x16x32_fp8_fp8 v[108:111], a[214:215], a[6:7], v[108:111]// 00000000D434: D3F3006C 1DB20DD6
	v_mfma_f32_16x16x32_fp8_fp8 v[120:123], a[216:217], a[0:1], v[120:123]// 00000000D43C: D3F30078 1DE201D8
	buffer_load_dwordx4 a[132:135], v51, s[24:27], 0 offen offset:1024// 00000000D444: E05C1400 80868433
	v_mfma_f32_16x16x32_fp8_fp8 v[120:123], a[218:219], a[2:3], v[120:123]// 00000000D44C: D3F30078 1DE205DA
	v_mfma_f32_16x16x32_fp8_fp8 v[120:123], a[220:221], a[4:5], v[120:123]// 00000000D454: D3F30078 1DE209DC
	v_mfma_f32_16x16x32_fp8_fp8 v[120:123], a[222:223], a[6:7], v[120:123]// 00000000D45C: D3F30078 1DE20DDE
	v_mfma_f32_16x16x32_fp8_fp8 v[132:135], a[224:225], a[0:1], v[132:135]// 00000000D464: D3F30084 1E1201E0
	buffer_load_dwordx4 a[136:139], v52, s[24:27], 0 offen     // 00000000D46C: E05C1000 80868834
	v_mfma_f32_16x16x32_fp8_fp8 v[132:135], a[226:227], a[2:3], v[132:135]// 00000000D474: D3F30084 1E1205E2
	v_mfma_f32_16x16x32_fp8_fp8 v[132:135], a[228:229], a[4:5], v[132:135]// 00000000D47C: D3F30084 1E1209E4
	v_mfma_f32_16x16x32_fp8_fp8 v[132:135], a[230:231], a[6:7], v[132:135]// 00000000D484: D3F30084 1E120DE6
	v_mfma_f32_16x16x32_fp8_fp8 v[144:147], a[232:233], a[0:1], v[144:147]// 00000000D48C: D3F30090 1E4201E8
	buffer_load_dwordx4 a[140:143], v52, s[24:27], 0 offen offset:1024// 00000000D494: E05C1400 80868C34
	v_mfma_f32_16x16x32_fp8_fp8 v[144:147], a[234:235], a[2:3], v[144:147]// 00000000D49C: D3F30090 1E4205EA
	v_mfma_f32_16x16x32_fp8_fp8 v[144:147], a[236:237], a[4:5], v[144:147]// 00000000D4A4: D3F30090 1E4209EC
	v_mfma_f32_16x16x32_fp8_fp8 v[144:147], a[238:239], a[6:7], v[144:147]// 00000000D4AC: D3F30090 1E420DEE
	v_mfma_f32_16x16x32_fp8_fp8 v[64:67], a[176:177], a[8:9], v[64:67]// 00000000D4B4: D3F30040 1D0211B0
	buffer_load_dwordx4 a[144:147], v53, s[24:27], 0 offen     // 00000000D4BC: E05C1000 80869035
	v_mfma_f32_16x16x32_fp8_fp8 v[64:67], a[178:179], a[10:11], v[64:67]// 00000000D4C4: D3F30040 1D0215B2
	v_mfma_f32_16x16x32_fp8_fp8 v[64:67], a[180:181], a[12:13], v[64:67]// 00000000D4CC: D3F30040 1D0219B4
	v_mfma_f32_16x16x32_fp8_fp8 v[64:67], a[182:183], a[14:15], v[64:67]// 00000000D4D4: D3F30040 1D021DB6
	v_mfma_f32_16x16x32_fp8_fp8 v[76:79], a[184:185], a[8:9], v[76:79]// 00000000D4DC: D3F3004C 1D3211B8
	buffer_load_dwordx4 a[148:151], v53, s[24:27], 0 offen offset:1024// 00000000D4E4: E05C1400 80869435
	v_mfma_f32_16x16x32_fp8_fp8 v[76:79], a[186:187], a[10:11], v[76:79]// 00000000D4EC: D3F3004C 1D3215BA
	v_mfma_f32_16x16x32_fp8_fp8 v[76:79], a[188:189], a[12:13], v[76:79]// 00000000D4F4: D3F3004C 1D3219BC
	v_mfma_f32_16x16x32_fp8_fp8 v[76:79], a[190:191], a[14:15], v[76:79]// 00000000D4FC: D3F3004C 1D321DBE
	v_mfma_f32_16x16x32_fp8_fp8 v[88:91], a[192:193], a[8:9], v[88:91]// 00000000D504: D3F30058 1D6211C0
	buffer_load_dwordx4 a[152:155], v54, s[24:27], 0 offen     // 00000000D50C: E05C1000 80869836
	v_mfma_f32_16x16x32_fp8_fp8 v[88:91], a[194:195], a[10:11], v[88:91]// 00000000D514: D3F30058 1D6215C2
	v_mfma_f32_16x16x32_fp8_fp8 v[88:91], a[196:197], a[12:13], v[88:91]// 00000000D51C: D3F30058 1D6219C4
	v_mfma_f32_16x16x32_fp8_fp8 v[88:91], a[198:199], a[14:15], v[88:91]// 00000000D524: D3F30058 1D621DC6
	v_mfma_f32_16x16x32_fp8_fp8 v[100:103], a[200:201], a[8:9], v[100:103]// 00000000D52C: D3F30064 1D9211C8
	buffer_load_dwordx4 a[156:159], v54, s[24:27], 0 offen offset:1024// 00000000D534: E05C1400 80869C36
	v_mfma_f32_16x16x32_fp8_fp8 v[100:103], a[202:203], a[10:11], v[100:103]// 00000000D53C: D3F30064 1D9215CA
	v_mfma_f32_16x16x32_fp8_fp8 v[100:103], a[204:205], a[12:13], v[100:103]// 00000000D544: D3F30064 1D9219CC
	v_mfma_f32_16x16x32_fp8_fp8 v[100:103], a[206:207], a[14:15], v[100:103]// 00000000D54C: D3F30064 1D921DCE
	v_mfma_f32_16x16x32_fp8_fp8 v[112:115], a[208:209], a[8:9], v[112:115]// 00000000D554: D3F30070 1DC211D0
	buffer_load_dwordx4 a[160:163], v55, s[24:27], 0 offen     // 00000000D55C: E05C1000 8086A037
	v_mfma_f32_16x16x32_fp8_fp8 v[112:115], a[210:211], a[10:11], v[112:115]// 00000000D564: D3F30070 1DC215D2
	v_mfma_f32_16x16x32_fp8_fp8 v[112:115], a[212:213], a[12:13], v[112:115]// 00000000D56C: D3F30070 1DC219D4
	v_mfma_f32_16x16x32_fp8_fp8 v[112:115], a[214:215], a[14:15], v[112:115]// 00000000D574: D3F30070 1DC21DD6
	v_mfma_f32_16x16x32_fp8_fp8 v[124:127], a[216:217], a[8:9], v[124:127]// 00000000D57C: D3F3007C 1DF211D8
	buffer_load_dwordx4 a[164:167], v55, s[24:27], 0 offen offset:1024// 00000000D584: E05C1400 8086A437
	v_mfma_f32_16x16x32_fp8_fp8 v[124:127], a[218:219], a[10:11], v[124:127]// 00000000D58C: D3F3007C 1DF215DA
	v_mfma_f32_16x16x32_fp8_fp8 v[124:127], a[220:221], a[12:13], v[124:127]// 00000000D594: D3F3007C 1DF219DC
	v_mfma_f32_16x16x32_fp8_fp8 v[124:127], a[222:223], a[14:15], v[124:127]// 00000000D59C: D3F3007C 1DF21DDE
	v_mfma_f32_16x16x32_fp8_fp8 v[136:139], a[224:225], a[8:9], v[136:139]// 00000000D5A4: D3F30088 1E2211E0
	buffer_load_dwordx4 a[168:171], v56, s[24:27], 0 offen     // 00000000D5AC: E05C1000 8086A838
	v_mfma_f32_16x16x32_fp8_fp8 v[136:139], a[226:227], a[10:11], v[136:139]// 00000000D5B4: D3F30088 1E2215E2
	v_mfma_f32_16x16x32_fp8_fp8 v[136:139], a[228:229], a[12:13], v[136:139]// 00000000D5BC: D3F30088 1E2219E4
	v_mfma_f32_16x16x32_fp8_fp8 v[136:139], a[230:231], a[14:15], v[136:139]// 00000000D5C4: D3F30088 1E221DE6
	v_mfma_f32_16x16x32_fp8_fp8 v[148:151], a[232:233], a[8:9], v[148:151]// 00000000D5CC: D3F30094 1E5211E8
	buffer_load_dwordx4 a[172:175], v56, s[24:27], 0 offen offset:1024// 00000000D5D4: E05C1400 8086AC38
	buffer_load_dword v43, s[20:23], 0 offen lds               // 00000000D5DC: E0511000 8005002B
	s_add_u32 m0, 0x100, s48                                   // 00000000D5E4: 807C30FF 00000100
	v_mfma_f32_16x16x32_fp8_fp8 v[148:151], a[234:235], a[10:11], v[148:151]// 00000000D5EC: D3F30094 1E5215EA
	v_mfma_f32_16x16x32_fp8_fp8 v[148:151], a[236:237], a[12:13], v[148:151]// 00000000D5F4: D3F30094 1E5219EC
	buffer_load_dword v44, s[20:23], 0 offen lds               // 00000000D5FC: E0511000 8005002C
	s_add_u32 m0, 0x200, s48                                   // 00000000D604: 807C30FF 00000200
	v_mfma_f32_16x16x32_fp8_fp8 v[148:151], a[238:239], a[14:15], v[148:151]// 00000000D60C: D3F30094 1E521DEE
	v_mfma_f32_16x16x32_fp8_fp8 v[68:71], a[176:177], a[16:17], v[68:71]// 00000000D614: D3F30044 1D1221B0
	buffer_load_dword v45, s[20:23], 0 offen lds               // 00000000D61C: E0511000 8005002D
	s_add_u32 m0, 0x300, s48                                   // 00000000D624: 807C30FF 00000300
	v_mfma_f32_16x16x32_fp8_fp8 v[68:71], a[178:179], a[18:19], v[68:71]// 00000000D62C: D3F30044 1D1225B2
	v_mfma_f32_16x16x32_fp8_fp8 v[68:71], a[180:181], a[20:21], v[68:71]// 00000000D634: D3F30044 1D1229B4
	buffer_load_dword v46, s[20:23], 0 offen lds               // 00000000D63C: E0511000 8005002E
	s_add_u32 m0, 0x400, s48                                   // 00000000D644: 807C30FF 00000400
	v_mfma_f32_16x16x32_fp8_fp8 v[68:71], a[182:183], a[22:23], v[68:71]// 00000000D64C: D3F30044 1D122DB6
	v_mfma_f32_16x16x32_fp8_fp8 v[80:83], a[184:185], a[16:17], v[80:83]// 00000000D654: D3F30050 1D4221B8
	buffer_load_dword v47, s[20:23], 0 offen lds               // 00000000D65C: E0511000 8005002F
	s_add_u32 m0, 0x500, s48                                   // 00000000D664: 807C30FF 00000500
	v_mfma_f32_16x16x32_fp8_fp8 v[80:83], a[186:187], a[18:19], v[80:83]// 00000000D66C: D3F30050 1D4225BA
	v_mfma_f32_16x16x32_fp8_fp8 v[80:83], a[188:189], a[20:21], v[80:83]// 00000000D674: D3F30050 1D4229BC
	buffer_load_dword v48, s[20:23], 0 offen lds               // 00000000D67C: E0511000 80050030
	s_add_u32 m0, 0, s49                                       // 00000000D684: 807C3180
	v_mfma_f32_16x16x32_fp8_fp8 v[80:83], a[190:191], a[22:23], v[80:83]// 00000000D688: D3F30050 1D422DBE
	v_mfma_f32_16x16x32_fp8_fp8 v[92:95], a[192:193], a[16:17], v[92:95]// 00000000D690: D3F3005C 1D7221C0
	v_mfma_f32_16x16x32_fp8_fp8 v[92:95], a[194:195], a[18:19], v[92:95]// 00000000D698: D3F3005C 1D7225C2
	v_mfma_f32_16x16x32_fp8_fp8 v[92:95], a[196:197], a[20:21], v[92:95]// 00000000D6A0: D3F3005C 1D7229C4
	v_mfma_f32_16x16x32_fp8_fp8 v[92:95], a[198:199], a[22:23], v[92:95]// 00000000D6A8: D3F3005C 1D722DC6
	v_mfma_f32_16x16x32_fp8_fp8 v[104:107], a[200:201], a[16:17], v[104:107]// 00000000D6B0: D3F30068 1DA221C8
	v_mfma_f32_16x16x32_fp8_fp8 v[104:107], a[202:203], a[18:19], v[104:107]// 00000000D6B8: D3F30068 1DA225CA
	v_mfma_f32_16x16x32_fp8_fp8 v[104:107], a[204:205], a[20:21], v[104:107]// 00000000D6C0: D3F30068 1DA229CC
	v_mfma_f32_16x16x32_fp8_fp8 v[104:107], a[206:207], a[22:23], v[104:107]// 00000000D6C8: D3F30068 1DA22DCE
	v_mfma_f32_16x16x32_fp8_fp8 v[116:119], a[208:209], a[16:17], v[116:119]// 00000000D6D0: D3F30074 1DD221D0
	v_mfma_f32_16x16x32_fp8_fp8 v[116:119], a[210:211], a[18:19], v[116:119]// 00000000D6D8: D3F30074 1DD225D2
	v_mfma_f32_16x16x32_fp8_fp8 v[116:119], a[212:213], a[20:21], v[116:119]// 00000000D6E0: D3F30074 1DD229D4
	v_mfma_f32_16x16x32_fp8_fp8 v[116:119], a[214:215], a[22:23], v[116:119]// 00000000D6E8: D3F30074 1DD22DD6
	v_mfma_f32_16x16x32_fp8_fp8 v[128:131], a[216:217], a[16:17], v[128:131]// 00000000D6F0: D3F30080 1E0221D8
	v_mfma_f32_16x16x32_fp8_fp8 v[128:131], a[218:219], a[18:19], v[128:131]// 00000000D6F8: D3F30080 1E0225DA
	v_mfma_f32_16x16x32_fp8_fp8 v[128:131], a[220:221], a[20:21], v[128:131]// 00000000D700: D3F30080 1E0229DC
	v_mfma_f32_16x16x32_fp8_fp8 v[128:131], a[222:223], a[22:23], v[128:131]// 00000000D708: D3F30080 1E022DDE
	v_mfma_f32_16x16x32_fp8_fp8 v[140:143], a[224:225], a[16:17], v[140:143]// 00000000D710: D3F3008C 1E3221E0
	v_mfma_f32_16x16x32_fp8_fp8 v[140:143], a[226:227], a[18:19], v[140:143]// 00000000D718: D3F3008C 1E3225E2
	v_mfma_f32_16x16x32_fp8_fp8 v[140:143], a[228:229], a[20:21], v[140:143]// 00000000D720: D3F3008C 1E3229E4
	v_mfma_f32_16x16x32_fp8_fp8 v[140:143], a[230:231], a[22:23], v[140:143]// 00000000D728: D3F3008C 1E322DE6
	v_mfma_f32_16x16x32_fp8_fp8 v[152:155], a[232:233], a[16:17], v[152:155]// 00000000D730: D3F30098 1E6221E8
	v_mfma_f32_16x16x32_fp8_fp8 v[152:155], a[234:235], a[18:19], v[152:155]// 00000000D738: D3F30098 1E6225EA
	v_mfma_f32_16x16x32_fp8_fp8 v[152:155], a[236:237], a[20:21], v[152:155]// 00000000D740: D3F30098 1E6229EC
	v_mfma_f32_16x16x32_fp8_fp8 v[152:155], a[238:239], a[22:23], v[152:155]// 00000000D748: D3F30098 1E622DEE
	s_waitcnt vmcnt(22)                                        // 00000000D750: BF8C4F76
	s_barrier                                                  // 00000000D754: BF8A0000
	v_mfma_f32_16x16x32_fp8_fp8 v[156:159], a[48:49], a[0:1], v[156:159]// 00000000D758: D3F3009C 1E720130
	buffer_load_dwordx4 a[176:179], v49, s[84:87], 0 offen     // 00000000D760: E05C1000 8095B031
	v_mfma_f32_16x16x32_fp8_fp8 v[156:159], a[50:51], a[2:3], v[156:159]// 00000000D768: D3F3009C 1E720532
	v_mfma_f32_16x16x32_fp8_fp8 v[156:159], a[52:53], a[4:5], v[156:159]// 00000000D770: D3F3009C 1E720934
	ds_read_b128 a[24:27], v2 offset:12544                     // 00000000D778: DBFE3100 18000002
	ds_read_b128 a[28:31], v2 offset:12608                     // 00000000D780: DBFE3140 1C000002
	v_mfma_f32_16x16x32_fp8_fp8 v[156:159], a[54:55], a[6:7], v[156:159]// 00000000D788: D3F3009C 1E720D36
	v_mfma_f32_16x16x32_fp8_fp8 v[168:171], a[56:57], a[0:1], v[168:171]// 00000000D790: D3F300A8 1EA20138
	buffer_load_dwordx4 a[180:183], v49, s[84:87], 0 offen offset:1024// 00000000D798: E05C1400 8095B431
	v_mfma_f32_16x16x32_fp8_fp8 v[168:171], a[58:59], a[2:3], v[168:171]// 00000000D7A0: D3F300A8 1EA2053A
	v_mfma_f32_16x16x32_fp8_fp8 v[168:171], a[60:61], a[4:5], v[168:171]// 00000000D7A8: D3F300A8 1EA2093C
	ds_read_b128 a[32:35], v2 offset:13056                     // 00000000D7B0: DBFE3300 20000002
	ds_read_b128 a[36:39], v2 offset:13120                     // 00000000D7B8: DBFE3340 24000002
	v_mfma_f32_16x16x32_fp8_fp8 v[168:171], a[62:63], a[6:7], v[168:171]// 00000000D7C0: D3F300A8 1EA20D3E
	v_mfma_f32_16x16x32_fp8_fp8 v[180:183], a[64:65], a[0:1], v[180:183]// 00000000D7C8: D3F300B4 1ED20140
	buffer_load_dwordx4 a[184:187], v50, s[84:87], 0 offen     // 00000000D7D0: E05C1000 8095B832
	v_mfma_f32_16x16x32_fp8_fp8 v[180:183], a[66:67], a[2:3], v[180:183]// 00000000D7D8: D3F300B4 1ED20542
	v_mfma_f32_16x16x32_fp8_fp8 v[180:183], a[68:69], a[4:5], v[180:183]// 00000000D7E0: D3F300B4 1ED20944
	ds_read_b128 a[40:43], v2 offset:13568                     // 00000000D7E8: DBFE3500 28000002
	ds_read_b128 a[44:47], v2 offset:13632                     // 00000000D7F0: DBFE3540 2C000002
	v_mfma_f32_16x16x32_fp8_fp8 v[180:183], a[70:71], a[6:7], v[180:183]// 00000000D7F8: D3F300B4 1ED20D46
	v_mfma_f32_16x16x32_fp8_fp8 v[192:195], a[72:73], a[0:1], v[192:195]// 00000000D800: D3F300C0 1F020148
	buffer_load_dwordx4 a[188:191], v50, s[84:87], 0 offen offset:1024// 00000000D808: E05C1400 8095BC32
	v_mfma_f32_16x16x32_fp8_fp8 v[192:195], a[74:75], a[2:3], v[192:195]// 00000000D810: D3F300C0 1F02054A
	v_mfma_f32_16x16x32_fp8_fp8 v[192:195], a[76:77], a[4:5], v[192:195]// 00000000D818: D3F300C0 1F02094C
	v_mfma_f32_16x16x32_fp8_fp8 v[192:195], a[78:79], a[6:7], v[192:195]// 00000000D820: D3F300C0 1F020D4E
	v_mfma_f32_16x16x32_fp8_fp8 v[204:207], a[80:81], a[0:1], v[204:207]// 00000000D828: D3F300CC 1F320150
	buffer_load_dwordx4 a[192:195], v51, s[84:87], 0 offen     // 00000000D830: E05C1000 8095C033
	v_mfma_f32_16x16x32_fp8_fp8 v[204:207], a[82:83], a[2:3], v[204:207]// 00000000D838: D3F300CC 1F320552
	v_mfma_f32_16x16x32_fp8_fp8 v[204:207], a[84:85], a[4:5], v[204:207]// 00000000D840: D3F300CC 1F320954
	v_mfma_f32_16x16x32_fp8_fp8 v[204:207], a[86:87], a[6:7], v[204:207]// 00000000D848: D3F300CC 1F320D56
	v_mfma_f32_16x16x32_fp8_fp8 v[216:219], a[88:89], a[0:1], v[216:219]// 00000000D850: D3F300D8 1F620158
	buffer_load_dwordx4 a[196:199], v51, s[84:87], 0 offen offset:1024// 00000000D858: E05C1400 8095C433
	v_mfma_f32_16x16x32_fp8_fp8 v[216:219], a[90:91], a[2:3], v[216:219]// 00000000D860: D3F300D8 1F62055A
	v_mfma_f32_16x16x32_fp8_fp8 v[216:219], a[92:93], a[4:5], v[216:219]// 00000000D868: D3F300D8 1F62095C
	v_mfma_f32_16x16x32_fp8_fp8 v[216:219], a[94:95], a[6:7], v[216:219]// 00000000D870: D3F300D8 1F620D5E
	v_mfma_f32_16x16x32_fp8_fp8 v[228:231], a[96:97], a[0:1], v[228:231]// 00000000D878: D3F300E4 1F920160
	buffer_load_dwordx4 a[200:203], v52, s[84:87], 0 offen     // 00000000D880: E05C1000 8095C834
	v_mfma_f32_16x16x32_fp8_fp8 v[228:231], a[98:99], a[2:3], v[228:231]// 00000000D888: D3F300E4 1F920562
	v_mfma_f32_16x16x32_fp8_fp8 v[228:231], a[100:101], a[4:5], v[228:231]// 00000000D890: D3F300E4 1F920964
	v_mfma_f32_16x16x32_fp8_fp8 v[228:231], a[102:103], a[6:7], v[228:231]// 00000000D898: D3F300E4 1F920D66
	v_mfma_f32_16x16x32_fp8_fp8 v[240:243], a[104:105], a[0:1], v[240:243]// 00000000D8A0: D3F300F0 1FC20168
	buffer_load_dwordx4 a[204:207], v52, s[84:87], 0 offen offset:1024// 00000000D8A8: E05C1400 8095CC34
	v_mfma_f32_16x16x32_fp8_fp8 v[240:243], a[106:107], a[2:3], v[240:243]// 00000000D8B0: D3F300F0 1FC2056A
	v_mfma_f32_16x16x32_fp8_fp8 v[240:243], a[108:109], a[4:5], v[240:243]// 00000000D8B8: D3F300F0 1FC2096C
	v_mfma_f32_16x16x32_fp8_fp8 v[240:243], a[110:111], a[6:7], v[240:243]// 00000000D8C0: D3F300F0 1FC20D6E
	v_mfma_f32_16x16x32_fp8_fp8 v[160:163], a[48:49], a[8:9], v[160:163]// 00000000D8C8: D3F300A0 1E821130
	buffer_load_dwordx4 a[208:211], v53, s[84:87], 0 offen     // 00000000D8D0: E05C1000 8095D035
	v_mfma_f32_16x16x32_fp8_fp8 v[160:163], a[50:51], a[10:11], v[160:163]// 00000000D8D8: D3F300A0 1E821532
	v_mfma_f32_16x16x32_fp8_fp8 v[160:163], a[52:53], a[12:13], v[160:163]// 00000000D8E0: D3F300A0 1E821934
	v_mfma_f32_16x16x32_fp8_fp8 v[160:163], a[54:55], a[14:15], v[160:163]// 00000000D8E8: D3F300A0 1E821D36
	v_mfma_f32_16x16x32_fp8_fp8 v[172:175], a[56:57], a[8:9], v[172:175]// 00000000D8F0: D3F300AC 1EB21138
	buffer_load_dwordx4 a[212:215], v53, s[84:87], 0 offen offset:1024// 00000000D8F8: E05C1400 8095D435
	v_mfma_f32_16x16x32_fp8_fp8 v[172:175], a[58:59], a[10:11], v[172:175]// 00000000D900: D3F300AC 1EB2153A
	v_mfma_f32_16x16x32_fp8_fp8 v[172:175], a[60:61], a[12:13], v[172:175]// 00000000D908: D3F300AC 1EB2193C
	v_mfma_f32_16x16x32_fp8_fp8 v[172:175], a[62:63], a[14:15], v[172:175]// 00000000D910: D3F300AC 1EB21D3E
	v_mfma_f32_16x16x32_fp8_fp8 v[184:187], a[64:65], a[8:9], v[184:187]// 00000000D918: D3F300B8 1EE21140
	buffer_load_dwordx4 a[216:219], v54, s[84:87], 0 offen     // 00000000D920: E05C1000 8095D836
	v_mfma_f32_16x16x32_fp8_fp8 v[184:187], a[66:67], a[10:11], v[184:187]// 00000000D928: D3F300B8 1EE21542
	v_mfma_f32_16x16x32_fp8_fp8 v[184:187], a[68:69], a[12:13], v[184:187]// 00000000D930: D3F300B8 1EE21944
	v_mfma_f32_16x16x32_fp8_fp8 v[184:187], a[70:71], a[14:15], v[184:187]// 00000000D938: D3F300B8 1EE21D46
	v_mfma_f32_16x16x32_fp8_fp8 v[196:199], a[72:73], a[8:9], v[196:199]// 00000000D940: D3F300C4 1F121148
	buffer_load_dwordx4 a[220:223], v54, s[84:87], 0 offen offset:1024// 00000000D948: E05C1400 8095DC36
	v_mfma_f32_16x16x32_fp8_fp8 v[196:199], a[74:75], a[10:11], v[196:199]// 00000000D950: D3F300C4 1F12154A
	v_mfma_f32_16x16x32_fp8_fp8 v[196:199], a[76:77], a[12:13], v[196:199]// 00000000D958: D3F300C4 1F12194C
	v_mfma_f32_16x16x32_fp8_fp8 v[196:199], a[78:79], a[14:15], v[196:199]// 00000000D960: D3F300C4 1F121D4E
	v_mfma_f32_16x16x32_fp8_fp8 v[208:211], a[80:81], a[8:9], v[208:211]// 00000000D968: D3F300D0 1F421150
	buffer_load_dwordx4 a[224:227], v55, s[84:87], 0 offen     // 00000000D970: E05C1000 8095E037
	v_mfma_f32_16x16x32_fp8_fp8 v[208:211], a[82:83], a[10:11], v[208:211]// 00000000D978: D3F300D0 1F421552
	v_mfma_f32_16x16x32_fp8_fp8 v[208:211], a[84:85], a[12:13], v[208:211]// 00000000D980: D3F300D0 1F421954
	v_mfma_f32_16x16x32_fp8_fp8 v[208:211], a[86:87], a[14:15], v[208:211]// 00000000D988: D3F300D0 1F421D56
	v_mfma_f32_16x16x32_fp8_fp8 v[220:223], a[88:89], a[8:9], v[220:223]// 00000000D990: D3F300DC 1F721158
	buffer_load_dwordx4 a[228:231], v55, s[84:87], 0 offen offset:1024// 00000000D998: E05C1400 8095E437
	v_mfma_f32_16x16x32_fp8_fp8 v[220:223], a[90:91], a[10:11], v[220:223]// 00000000D9A0: D3F300DC 1F72155A
	v_mfma_f32_16x16x32_fp8_fp8 v[220:223], a[92:93], a[12:13], v[220:223]// 00000000D9A8: D3F300DC 1F72195C
	v_mfma_f32_16x16x32_fp8_fp8 v[220:223], a[94:95], a[14:15], v[220:223]// 00000000D9B0: D3F300DC 1F721D5E
	v_mfma_f32_16x16x32_fp8_fp8 v[232:235], a[96:97], a[8:9], v[232:235]// 00000000D9B8: D3F300E8 1FA21160
	buffer_load_dwordx4 a[232:235], v56, s[84:87], 0 offen     // 00000000D9C0: E05C1000 8095E838
	v_mfma_f32_16x16x32_fp8_fp8 v[232:235], a[98:99], a[10:11], v[232:235]// 00000000D9C8: D3F300E8 1FA21562
	v_mfma_f32_16x16x32_fp8_fp8 v[232:235], a[100:101], a[12:13], v[232:235]// 00000000D9D0: D3F300E8 1FA21964
	v_mfma_f32_16x16x32_fp8_fp8 v[232:235], a[102:103], a[14:15], v[232:235]// 00000000D9D8: D3F300E8 1FA21D66
	v_mfma_f32_16x16x32_fp8_fp8 v[244:247], a[104:105], a[8:9], v[244:247]// 00000000D9E0: D3F300F4 1FD21168
	buffer_load_dwordx4 a[236:239], v56, s[84:87], 0 offen offset:1024// 00000000D9E8: E05C1400 8095EC38
	v_mfma_f32_16x16x32_fp8_fp8 v[244:247], a[106:107], a[10:11], v[244:247]// 00000000D9F0: D3F300F4 1FD2156A
	v_mfma_f32_16x16x32_fp8_fp8 v[244:247], a[108:109], a[12:13], v[244:247]// 00000000D9F8: D3F300F4 1FD2196C
	v_mfma_f32_16x16x32_fp8_fp8 v[244:247], a[110:111], a[14:15], v[244:247]// 00000000DA00: D3F300F4 1FD21D6E
	v_mfma_f32_16x16x32_fp8_fp8 v[164:167], a[48:49], a[16:17], v[164:167]// 00000000DA08: D3F300A4 1E922130
	v_mfma_f32_16x16x32_fp8_fp8 v[164:167], a[50:51], a[18:19], v[164:167]// 00000000DA10: D3F300A4 1E922532
	v_mfma_f32_16x16x32_fp8_fp8 v[164:167], a[52:53], a[20:21], v[164:167]// 00000000DA18: D3F300A4 1E922934
	v_mfma_f32_16x16x32_fp8_fp8 v[164:167], a[54:55], a[22:23], v[164:167]// 00000000DA20: D3F300A4 1E922D36
	v_mfma_f32_16x16x32_fp8_fp8 v[176:179], a[56:57], a[16:17], v[176:179]// 00000000DA28: D3F300B0 1EC22138
	v_mfma_f32_16x16x32_fp8_fp8 v[176:179], a[58:59], a[18:19], v[176:179]// 00000000DA30: D3F300B0 1EC2253A
	v_mfma_f32_16x16x32_fp8_fp8 v[176:179], a[60:61], a[20:21], v[176:179]// 00000000DA38: D3F300B0 1EC2293C
	v_mfma_f32_16x16x32_fp8_fp8 v[176:179], a[62:63], a[22:23], v[176:179]// 00000000DA40: D3F300B0 1EC22D3E
	v_mfma_f32_16x16x32_fp8_fp8 v[188:191], a[64:65], a[16:17], v[188:191]// 00000000DA48: D3F300BC 1EF22140
	v_mfma_f32_16x16x32_fp8_fp8 v[188:191], a[66:67], a[18:19], v[188:191]// 00000000DA50: D3F300BC 1EF22542
	v_mfma_f32_16x16x32_fp8_fp8 v[188:191], a[68:69], a[20:21], v[188:191]// 00000000DA58: D3F300BC 1EF22944
	v_mfma_f32_16x16x32_fp8_fp8 v[188:191], a[70:71], a[22:23], v[188:191]// 00000000DA60: D3F300BC 1EF22D46
	v_mfma_f32_16x16x32_fp8_fp8 v[200:203], a[72:73], a[16:17], v[200:203]// 00000000DA68: D3F300C8 1F222148
	v_mfma_f32_16x16x32_fp8_fp8 v[200:203], a[74:75], a[18:19], v[200:203]// 00000000DA70: D3F300C8 1F22254A
	v_mfma_f32_16x16x32_fp8_fp8 v[200:203], a[76:77], a[20:21], v[200:203]// 00000000DA78: D3F300C8 1F22294C
	v_mfma_f32_16x16x32_fp8_fp8 v[200:203], a[78:79], a[22:23], v[200:203]// 00000000DA80: D3F300C8 1F222D4E
	v_mfma_f32_16x16x32_fp8_fp8 v[212:215], a[80:81], a[16:17], v[212:215]// 00000000DA88: D3F300D4 1F522150
	v_mfma_f32_16x16x32_fp8_fp8 v[212:215], a[82:83], a[18:19], v[212:215]// 00000000DA90: D3F300D4 1F522552
	v_mfma_f32_16x16x32_fp8_fp8 v[212:215], a[84:85], a[20:21], v[212:215]// 00000000DA98: D3F300D4 1F522954
	v_mfma_f32_16x16x32_fp8_fp8 v[212:215], a[86:87], a[22:23], v[212:215]// 00000000DAA0: D3F300D4 1F522D56
	v_mfma_f32_16x16x32_fp8_fp8 v[224:227], a[88:89], a[16:17], v[224:227]// 00000000DAA8: D3F300E0 1F822158
	v_mfma_f32_16x16x32_fp8_fp8 v[224:227], a[90:91], a[18:19], v[224:227]// 00000000DAB0: D3F300E0 1F82255A
	v_mfma_f32_16x16x32_fp8_fp8 v[224:227], a[92:93], a[20:21], v[224:227]// 00000000DAB8: D3F300E0 1F82295C
	v_mfma_f32_16x16x32_fp8_fp8 v[224:227], a[94:95], a[22:23], v[224:227]// 00000000DAC0: D3F300E0 1F822D5E
	v_mfma_f32_16x16x32_fp8_fp8 v[236:239], a[96:97], a[16:17], v[236:239]// 00000000DAC8: D3F300EC 1FB22160
	s_add_u32 s60, 0x180, s80                                  // 00000000DAD0: 803C50FF 00000180
	s_cmp_lt_u32 s60, s81                                      // 00000000DAD8: BF0A513C
	s_cselect_b32 s57, s57, 0                                  // 00000000DADC: 85398039
	v_mfma_f32_16x16x32_fp8_fp8 v[236:239], a[98:99], a[18:19], v[236:239]// 00000000DAE0: D3F300EC 1FB22562
	s_add_u32 s60, 0x100, s80                                  // 00000000DAE8: 803C50FF 00000100
	s_cmp_lt_u32 s60, s81                                      // 00000000DAF0: BF0A513C
	s_cselect_b32 s58, s58, 0                                  // 00000000DAF4: 853A803A
	v_mfma_f32_16x16x32_fp8_fp8 v[236:239], a[100:101], a[20:21], v[236:239]// 00000000DAF8: D3F300EC 1FB22964
	s_add_u32 s60, 0x100, s80                                  // 00000000DB00: 803C50FF 00000100
	s_cmp_lt_u32 s60, s81                                      // 00000000DB08: BF0A513C
	s_cselect_b32 s83, s83, 0                                  // 00000000DB0C: 85538053
	v_mfma_f32_16x16x32_fp8_fp8 v[236:239], a[102:103], a[22:23], v[236:239]// 00000000DB10: D3F300EC 1FB22D66
	s_add_u32 s24, s58, s24                                    // 00000000DB18: 8018183A
	s_addc_u32 s25, 0, s25                                     // 00000000DB1C: 82191980
	v_mfma_f32_16x16x32_fp8_fp8 v[248:251], a[104:105], a[16:17], v[248:251]// 00000000DB20: D3F300F8 1FE22168
	s_add_u32 s20, s57, s20                                    // 00000000DB28: 80141439
	s_addc_u32 s21, 0, s21                                     // 00000000DB2C: 82151580
	v_mfma_f32_16x16x32_fp8_fp8 v[248:251], a[106:107], a[18:19], v[248:251]// 00000000DB30: D3F300F8 1FE2256A
	s_add_u32 s84, s83, s84                                    // 00000000DB38: 80545453
	s_addc_u32 s85, 0, s85                                     // 00000000DB3C: 82555580
	v_mfma_f32_16x16x32_fp8_fp8 v[248:251], a[108:109], a[20:21], v[248:251]// 00000000DB40: D3F300F8 1FE2296C
	v_mfma_f32_16x16x32_fp8_fp8 v[248:251], a[110:111], a[22:23], v[248:251]// 00000000DB48: D3F300F8 1FE22D6E
	s_addk_i32 s80, 0x80                                       // 00000000DB50: B7500080
	s_cmp_lt_i32 s80, s81                                      // 00000000DB54: BF045150
	s_cbranch_scc0 label_2E56                                  // 00000000DB58: BF8401FC
	s_waitcnt vmcnt(22) lgkmcnt(0)                             // 00000000DB5C: BF8C4076
	v_mfma_f32_16x16x32_fp8_fp8 v[60:63], a[112:113], a[24:25], v[60:63]// 00000000DB60: D3F3003C 1CF23170
	buffer_load_dwordx4 a[48:51], v49, s[24:27], 0 offen       // 00000000DB68: E05C1000 80863031
	v_mfma_f32_16x16x32_fp8_fp8 v[60:63], a[114:115], a[26:27], v[60:63]// 00000000DB70: D3F3003C 1CF23572
	v_mfma_f32_16x16x32_fp8_fp8 v[60:63], a[116:117], a[28:29], v[60:63]// 00000000DB78: D3F3003C 1CF23974
	v_mfma_f32_16x16x32_fp8_fp8 v[60:63], a[118:119], a[30:31], v[60:63]// 00000000DB80: D3F3003C 1CF23D76
	v_mfma_f32_16x16x32_fp8_fp8 v[72:75], a[120:121], a[24:25], v[72:75]// 00000000DB88: D3F30048 1D223178
	buffer_load_dwordx4 a[52:55], v49, s[24:27], 0 offen offset:1024// 00000000DB90: E05C1400 80863431
	v_mfma_f32_16x16x32_fp8_fp8 v[72:75], a[122:123], a[26:27], v[72:75]// 00000000DB98: D3F30048 1D22357A
	v_mfma_f32_16x16x32_fp8_fp8 v[72:75], a[124:125], a[28:29], v[72:75]// 00000000DBA0: D3F30048 1D22397C
	v_mfma_f32_16x16x32_fp8_fp8 v[72:75], a[126:127], a[30:31], v[72:75]// 00000000DBA8: D3F30048 1D223D7E
	v_mfma_f32_16x16x32_fp8_fp8 v[84:87], a[128:129], a[24:25], v[84:87]// 00000000DBB0: D3F30054 1D523180
	buffer_load_dwordx4 a[56:59], v50, s[24:27], 0 offen       // 00000000DBB8: E05C1000 80863832
	v_mfma_f32_16x16x32_fp8_fp8 v[84:87], a[130:131], a[26:27], v[84:87]// 00000000DBC0: D3F30054 1D523582
	v_mfma_f32_16x16x32_fp8_fp8 v[84:87], a[132:133], a[28:29], v[84:87]// 00000000DBC8: D3F30054 1D523984
	v_mfma_f32_16x16x32_fp8_fp8 v[84:87], a[134:135], a[30:31], v[84:87]// 00000000DBD0: D3F30054 1D523D86
	v_mfma_f32_16x16x32_fp8_fp8 v[96:99], a[136:137], a[24:25], v[96:99]// 00000000DBD8: D3F30060 1D823188
	buffer_load_dwordx4 a[60:63], v50, s[24:27], 0 offen offset:1024// 00000000DBE0: E05C1400 80863C32
	v_mfma_f32_16x16x32_fp8_fp8 v[96:99], a[138:139], a[26:27], v[96:99]// 00000000DBE8: D3F30060 1D82358A
	v_mfma_f32_16x16x32_fp8_fp8 v[96:99], a[140:141], a[28:29], v[96:99]// 00000000DBF0: D3F30060 1D82398C
	v_mfma_f32_16x16x32_fp8_fp8 v[96:99], a[142:143], a[30:31], v[96:99]// 00000000DBF8: D3F30060 1D823D8E
	v_mfma_f32_16x16x32_fp8_fp8 v[108:111], a[144:145], a[24:25], v[108:111]// 00000000DC00: D3F3006C 1DB23190
	buffer_load_dwordx4 a[64:67], v51, s[24:27], 0 offen       // 00000000DC08: E05C1000 80864033
	v_mfma_f32_16x16x32_fp8_fp8 v[108:111], a[146:147], a[26:27], v[108:111]// 00000000DC10: D3F3006C 1DB23592
	v_mfma_f32_16x16x32_fp8_fp8 v[108:111], a[148:149], a[28:29], v[108:111]// 00000000DC18: D3F3006C 1DB23994
	v_mfma_f32_16x16x32_fp8_fp8 v[108:111], a[150:151], a[30:31], v[108:111]// 00000000DC20: D3F3006C 1DB23D96
	v_mfma_f32_16x16x32_fp8_fp8 v[120:123], a[152:153], a[24:25], v[120:123]// 00000000DC28: D3F30078 1DE23198
	buffer_load_dwordx4 a[68:71], v51, s[24:27], 0 offen offset:1024// 00000000DC30: E05C1400 80864433
	v_mfma_f32_16x16x32_fp8_fp8 v[120:123], a[154:155], a[26:27], v[120:123]// 00000000DC38: D3F30078 1DE2359A
	v_mfma_f32_16x16x32_fp8_fp8 v[120:123], a[156:157], a[28:29], v[120:123]// 00000000DC40: D3F30078 1DE2399C
	v_mfma_f32_16x16x32_fp8_fp8 v[120:123], a[158:159], a[30:31], v[120:123]// 00000000DC48: D3F30078 1DE23D9E
	v_mfma_f32_16x16x32_fp8_fp8 v[132:135], a[160:161], a[24:25], v[132:135]// 00000000DC50: D3F30084 1E1231A0
	buffer_load_dwordx4 a[72:75], v52, s[24:27], 0 offen       // 00000000DC58: E05C1000 80864834
	v_mfma_f32_16x16x32_fp8_fp8 v[132:135], a[162:163], a[26:27], v[132:135]// 00000000DC60: D3F30084 1E1235A2
	v_mfma_f32_16x16x32_fp8_fp8 v[132:135], a[164:165], a[28:29], v[132:135]// 00000000DC68: D3F30084 1E1239A4
	v_mfma_f32_16x16x32_fp8_fp8 v[132:135], a[166:167], a[30:31], v[132:135]// 00000000DC70: D3F30084 1E123DA6
	v_mfma_f32_16x16x32_fp8_fp8 v[144:147], a[168:169], a[24:25], v[144:147]// 00000000DC78: D3F30090 1E4231A8
	buffer_load_dwordx4 a[76:79], v52, s[24:27], 0 offen offset:1024// 00000000DC80: E05C1400 80864C34
	v_mfma_f32_16x16x32_fp8_fp8 v[144:147], a[170:171], a[26:27], v[144:147]// 00000000DC88: D3F30090 1E4235AA
	v_mfma_f32_16x16x32_fp8_fp8 v[144:147], a[172:173], a[28:29], v[144:147]// 00000000DC90: D3F30090 1E4239AC
	v_mfma_f32_16x16x32_fp8_fp8 v[144:147], a[174:175], a[30:31], v[144:147]// 00000000DC98: D3F30090 1E423DAE
	v_mfma_f32_16x16x32_fp8_fp8 v[64:67], a[112:113], a[32:33], v[64:67]// 00000000DCA0: D3F30040 1D024170
	buffer_load_dwordx4 a[80:83], v53, s[24:27], 0 offen       // 00000000DCA8: E05C1000 80865035
	v_mfma_f32_16x16x32_fp8_fp8 v[64:67], a[114:115], a[34:35], v[64:67]// 00000000DCB0: D3F30040 1D024572
	v_mfma_f32_16x16x32_fp8_fp8 v[64:67], a[116:117], a[36:37], v[64:67]// 00000000DCB8: D3F30040 1D024974
	v_mfma_f32_16x16x32_fp8_fp8 v[64:67], a[118:119], a[38:39], v[64:67]// 00000000DCC0: D3F30040 1D024D76
	v_mfma_f32_16x16x32_fp8_fp8 v[76:79], a[120:121], a[32:33], v[76:79]// 00000000DCC8: D3F3004C 1D324178
	buffer_load_dwordx4 a[84:87], v53, s[24:27], 0 offen offset:1024// 00000000DCD0: E05C1400 80865435
	v_mfma_f32_16x16x32_fp8_fp8 v[76:79], a[122:123], a[34:35], v[76:79]// 00000000DCD8: D3F3004C 1D32457A
	v_mfma_f32_16x16x32_fp8_fp8 v[76:79], a[124:125], a[36:37], v[76:79]// 00000000DCE0: D3F3004C 1D32497C
	v_mfma_f32_16x16x32_fp8_fp8 v[76:79], a[126:127], a[38:39], v[76:79]// 00000000DCE8: D3F3004C 1D324D7E
	v_mfma_f32_16x16x32_fp8_fp8 v[88:91], a[128:129], a[32:33], v[88:91]// 00000000DCF0: D3F30058 1D624180
	buffer_load_dwordx4 a[88:91], v54, s[24:27], 0 offen       // 00000000DCF8: E05C1000 80865836
	v_mfma_f32_16x16x32_fp8_fp8 v[88:91], a[130:131], a[34:35], v[88:91]// 00000000DD00: D3F30058 1D624582
	v_mfma_f32_16x16x32_fp8_fp8 v[88:91], a[132:133], a[36:37], v[88:91]// 00000000DD08: D3F30058 1D624984
	v_mfma_f32_16x16x32_fp8_fp8 v[88:91], a[134:135], a[38:39], v[88:91]// 00000000DD10: D3F30058 1D624D86
	v_mfma_f32_16x16x32_fp8_fp8 v[100:103], a[136:137], a[32:33], v[100:103]// 00000000DD18: D3F30064 1D924188
	buffer_load_dwordx4 a[92:95], v54, s[24:27], 0 offen offset:1024// 00000000DD20: E05C1400 80865C36
	v_mfma_f32_16x16x32_fp8_fp8 v[100:103], a[138:139], a[34:35], v[100:103]// 00000000DD28: D3F30064 1D92458A
	v_mfma_f32_16x16x32_fp8_fp8 v[100:103], a[140:141], a[36:37], v[100:103]// 00000000DD30: D3F30064 1D92498C
	v_mfma_f32_16x16x32_fp8_fp8 v[100:103], a[142:143], a[38:39], v[100:103]// 00000000DD38: D3F30064 1D924D8E
	v_mfma_f32_16x16x32_fp8_fp8 v[112:115], a[144:145], a[32:33], v[112:115]// 00000000DD40: D3F30070 1DC24190
	buffer_load_dwordx4 a[96:99], v55, s[24:27], 0 offen       // 00000000DD48: E05C1000 80866037
	v_mfma_f32_16x16x32_fp8_fp8 v[112:115], a[146:147], a[34:35], v[112:115]// 00000000DD50: D3F30070 1DC24592
	v_mfma_f32_16x16x32_fp8_fp8 v[112:115], a[148:149], a[36:37], v[112:115]// 00000000DD58: D3F30070 1DC24994
	v_mfma_f32_16x16x32_fp8_fp8 v[112:115], a[150:151], a[38:39], v[112:115]// 00000000DD60: D3F30070 1DC24D96
	v_mfma_f32_16x16x32_fp8_fp8 v[124:127], a[152:153], a[32:33], v[124:127]// 00000000DD68: D3F3007C 1DF24198
	buffer_load_dwordx4 a[100:103], v55, s[24:27], 0 offen offset:1024// 00000000DD70: E05C1400 80866437
	v_mfma_f32_16x16x32_fp8_fp8 v[124:127], a[154:155], a[34:35], v[124:127]// 00000000DD78: D3F3007C 1DF2459A
	v_mfma_f32_16x16x32_fp8_fp8 v[124:127], a[156:157], a[36:37], v[124:127]// 00000000DD80: D3F3007C 1DF2499C
	v_mfma_f32_16x16x32_fp8_fp8 v[124:127], a[158:159], a[38:39], v[124:127]// 00000000DD88: D3F3007C 1DF24D9E
	v_mfma_f32_16x16x32_fp8_fp8 v[136:139], a[160:161], a[32:33], v[136:139]// 00000000DD90: D3F30088 1E2241A0
	buffer_load_dwordx4 a[104:107], v56, s[24:27], 0 offen     // 00000000DD98: E05C1000 80866838
	v_mfma_f32_16x16x32_fp8_fp8 v[136:139], a[162:163], a[34:35], v[136:139]// 00000000DDA0: D3F30088 1E2245A2
	v_mfma_f32_16x16x32_fp8_fp8 v[136:139], a[164:165], a[36:37], v[136:139]// 00000000DDA8: D3F30088 1E2249A4
	v_mfma_f32_16x16x32_fp8_fp8 v[136:139], a[166:167], a[38:39], v[136:139]// 00000000DDB0: D3F30088 1E224DA6
	v_mfma_f32_16x16x32_fp8_fp8 v[148:151], a[168:169], a[32:33], v[148:151]// 00000000DDB8: D3F30094 1E5241A8
	buffer_load_dwordx4 a[108:111], v56, s[24:27], 0 offen offset:1024// 00000000DDC0: E05C1400 80866C38
	buffer_load_dword v43, s[20:23], 0 offen lds               // 00000000DDC8: E0511000 8005002B
	s_add_u32 m0, 0x100, s49                                   // 00000000DDD0: 807C31FF 00000100
	v_mfma_f32_16x16x32_fp8_fp8 v[148:151], a[170:171], a[34:35], v[148:151]// 00000000DDD8: D3F30094 1E5245AA
	v_mfma_f32_16x16x32_fp8_fp8 v[148:151], a[172:173], a[36:37], v[148:151]// 00000000DDE0: D3F30094 1E5249AC
	buffer_load_dword v44, s[20:23], 0 offen lds               // 00000000DDE8: E0511000 8005002C
	s_add_u32 m0, 0x200, s49                                   // 00000000DDF0: 807C31FF 00000200
	v_mfma_f32_16x16x32_fp8_fp8 v[148:151], a[174:175], a[38:39], v[148:151]// 00000000DDF8: D3F30094 1E524DAE
	v_mfma_f32_16x16x32_fp8_fp8 v[68:71], a[112:113], a[40:41], v[68:71]// 00000000DE00: D3F30044 1D125170
	buffer_load_dword v45, s[20:23], 0 offen lds               // 00000000DE08: E0511000 8005002D
	s_add_u32 m0, 0x300, s49                                   // 00000000DE10: 807C31FF 00000300
	v_mfma_f32_16x16x32_fp8_fp8 v[68:71], a[114:115], a[42:43], v[68:71]// 00000000DE18: D3F30044 1D125572
	v_mfma_f32_16x16x32_fp8_fp8 v[68:71], a[116:117], a[44:45], v[68:71]// 00000000DE20: D3F30044 1D125974
	buffer_load_dword v46, s[20:23], 0 offen lds               // 00000000DE28: E0511000 8005002E
	s_add_u32 m0, 0x400, s49                                   // 00000000DE30: 807C31FF 00000400
	v_mfma_f32_16x16x32_fp8_fp8 v[68:71], a[118:119], a[46:47], v[68:71]// 00000000DE38: D3F30044 1D125D76
	v_mfma_f32_16x16x32_fp8_fp8 v[80:83], a[120:121], a[40:41], v[80:83]// 00000000DE40: D3F30050 1D425178
	buffer_load_dword v47, s[20:23], 0 offen lds               // 00000000DE48: E0511000 8005002F
	s_add_u32 m0, 0x500, s49                                   // 00000000DE50: 807C31FF 00000500
	v_mfma_f32_16x16x32_fp8_fp8 v[80:83], a[122:123], a[42:43], v[80:83]// 00000000DE58: D3F30050 1D42557A
	v_mfma_f32_16x16x32_fp8_fp8 v[80:83], a[124:125], a[44:45], v[80:83]// 00000000DE60: D3F30050 1D42597C
	buffer_load_dword v48, s[20:23], 0 offen lds               // 00000000DE68: E0511000 80050030
	s_add_u32 m0, 0, s50                                       // 00000000DE70: 807C3280
	v_mfma_f32_16x16x32_fp8_fp8 v[80:83], a[126:127], a[46:47], v[80:83]// 00000000DE74: D3F30050 1D425D7E
	v_mfma_f32_16x16x32_fp8_fp8 v[92:95], a[128:129], a[40:41], v[92:95]// 00000000DE7C: D3F3005C 1D725180
	v_mfma_f32_16x16x32_fp8_fp8 v[92:95], a[130:131], a[42:43], v[92:95]// 00000000DE84: D3F3005C 1D725582
	v_mfma_f32_16x16x32_fp8_fp8 v[92:95], a[132:133], a[44:45], v[92:95]// 00000000DE8C: D3F3005C 1D725984
	v_mfma_f32_16x16x32_fp8_fp8 v[92:95], a[134:135], a[46:47], v[92:95]// 00000000DE94: D3F3005C 1D725D86
	v_mfma_f32_16x16x32_fp8_fp8 v[104:107], a[136:137], a[40:41], v[104:107]// 00000000DE9C: D3F30068 1DA25188
	v_mfma_f32_16x16x32_fp8_fp8 v[104:107], a[138:139], a[42:43], v[104:107]// 00000000DEA4: D3F30068 1DA2558A
	v_mfma_f32_16x16x32_fp8_fp8 v[104:107], a[140:141], a[44:45], v[104:107]// 00000000DEAC: D3F30068 1DA2598C
	v_mfma_f32_16x16x32_fp8_fp8 v[104:107], a[142:143], a[46:47], v[104:107]// 00000000DEB4: D3F30068 1DA25D8E
	v_mfma_f32_16x16x32_fp8_fp8 v[116:119], a[144:145], a[40:41], v[116:119]// 00000000DEBC: D3F30074 1DD25190
	v_mfma_f32_16x16x32_fp8_fp8 v[116:119], a[146:147], a[42:43], v[116:119]// 00000000DEC4: D3F30074 1DD25592
	v_mfma_f32_16x16x32_fp8_fp8 v[116:119], a[148:149], a[44:45], v[116:119]// 00000000DECC: D3F30074 1DD25994
	v_mfma_f32_16x16x32_fp8_fp8 v[116:119], a[150:151], a[46:47], v[116:119]// 00000000DED4: D3F30074 1DD25D96
	v_mfma_f32_16x16x32_fp8_fp8 v[128:131], a[152:153], a[40:41], v[128:131]// 00000000DEDC: D3F30080 1E025198
	v_mfma_f32_16x16x32_fp8_fp8 v[128:131], a[154:155], a[42:43], v[128:131]// 00000000DEE4: D3F30080 1E02559A
	v_mfma_f32_16x16x32_fp8_fp8 v[128:131], a[156:157], a[44:45], v[128:131]// 00000000DEEC: D3F30080 1E02599C
	v_mfma_f32_16x16x32_fp8_fp8 v[128:131], a[158:159], a[46:47], v[128:131]// 00000000DEF4: D3F30080 1E025D9E
	v_mfma_f32_16x16x32_fp8_fp8 v[140:143], a[160:161], a[40:41], v[140:143]// 00000000DEFC: D3F3008C 1E3251A0
	v_mfma_f32_16x16x32_fp8_fp8 v[140:143], a[162:163], a[42:43], v[140:143]// 00000000DF04: D3F3008C 1E3255A2
	v_mfma_f32_16x16x32_fp8_fp8 v[140:143], a[164:165], a[44:45], v[140:143]// 00000000DF0C: D3F3008C 1E3259A4
	v_mfma_f32_16x16x32_fp8_fp8 v[140:143], a[166:167], a[46:47], v[140:143]// 00000000DF14: D3F3008C 1E325DA6
	v_mfma_f32_16x16x32_fp8_fp8 v[152:155], a[168:169], a[40:41], v[152:155]// 00000000DF1C: D3F30098 1E6251A8
	v_mfma_f32_16x16x32_fp8_fp8 v[152:155], a[170:171], a[42:43], v[152:155]// 00000000DF24: D3F30098 1E6255AA
	v_mfma_f32_16x16x32_fp8_fp8 v[152:155], a[172:173], a[44:45], v[152:155]// 00000000DF2C: D3F30098 1E6259AC
	v_mfma_f32_16x16x32_fp8_fp8 v[152:155], a[174:175], a[46:47], v[152:155]// 00000000DF34: D3F30098 1E625DAE
	s_waitcnt vmcnt(22)                                        // 00000000DF3C: BF8C4F76
	s_barrier                                                  // 00000000DF40: BF8A0000
	v_mfma_f32_16x16x32_fp8_fp8 v[156:159], a[176:177], a[24:25], v[156:159]// 00000000DF44: D3F3009C 1E7231B0
	buffer_load_dwordx4 a[112:115], v49, s[84:87], 0 offen     // 00000000DF4C: E05C1000 80957031
	v_mfma_f32_16x16x32_fp8_fp8 v[156:159], a[178:179], a[26:27], v[156:159]// 00000000DF54: D3F3009C 1E7235B2
	v_mfma_f32_16x16x32_fp8_fp8 v[156:159], a[180:181], a[28:29], v[156:159]// 00000000DF5C: D3F3009C 1E7239B4
	ds_read_b128 a[0:3], v2                                    // 00000000DF64: DBFE0000 00000002
	ds_read_b128 a[4:7], v2 offset:64                          // 00000000DF6C: DBFE0040 04000002
	v_mfma_f32_16x16x32_fp8_fp8 v[156:159], a[182:183], a[30:31], v[156:159]// 00000000DF74: D3F3009C 1E723DB6
	v_mfma_f32_16x16x32_fp8_fp8 v[168:171], a[184:185], a[24:25], v[168:171]// 00000000DF7C: D3F300A8 1EA231B8
	buffer_load_dwordx4 a[116:119], v49, s[84:87], 0 offen offset:1024// 00000000DF84: E05C1400 80957431
	v_mfma_f32_16x16x32_fp8_fp8 v[168:171], a[186:187], a[26:27], v[168:171]// 00000000DF8C: D3F300A8 1EA235BA
	v_mfma_f32_16x16x32_fp8_fp8 v[168:171], a[188:189], a[28:29], v[168:171]// 00000000DF94: D3F300A8 1EA239BC
	ds_read_b128 a[8:11], v2 offset:512                        // 00000000DF9C: DBFE0200 08000002
	ds_read_b128 a[12:15], v2 offset:576                       // 00000000DFA4: DBFE0240 0C000002
	v_mfma_f32_16x16x32_fp8_fp8 v[168:171], a[190:191], a[30:31], v[168:171]// 00000000DFAC: D3F300A8 1EA23DBE
	v_mfma_f32_16x16x32_fp8_fp8 v[180:183], a[192:193], a[24:25], v[180:183]// 00000000DFB4: D3F300B4 1ED231C0
	buffer_load_dwordx4 a[120:123], v50, s[84:87], 0 offen     // 00000000DFBC: E05C1000 80957832
	v_mfma_f32_16x16x32_fp8_fp8 v[180:183], a[194:195], a[26:27], v[180:183]// 00000000DFC4: D3F300B4 1ED235C2
	v_mfma_f32_16x16x32_fp8_fp8 v[180:183], a[196:197], a[28:29], v[180:183]// 00000000DFCC: D3F300B4 1ED239C4
	ds_read_b128 a[16:19], v2 offset:1024                      // 00000000DFD4: DBFE0400 10000002
	ds_read_b128 a[20:23], v2 offset:1088                      // 00000000DFDC: DBFE0440 14000002
	v_mfma_f32_16x16x32_fp8_fp8 v[180:183], a[198:199], a[30:31], v[180:183]// 00000000DFE4: D3F300B4 1ED23DC6
	v_mfma_f32_16x16x32_fp8_fp8 v[192:195], a[200:201], a[24:25], v[192:195]// 00000000DFEC: D3F300C0 1F0231C8
	buffer_load_dwordx4 a[124:127], v50, s[84:87], 0 offen offset:1024// 00000000DFF4: E05C1400 80957C32
	v_mfma_f32_16x16x32_fp8_fp8 v[192:195], a[202:203], a[26:27], v[192:195]// 00000000DFFC: D3F300C0 1F0235CA
	v_mfma_f32_16x16x32_fp8_fp8 v[192:195], a[204:205], a[28:29], v[192:195]// 00000000E004: D3F300C0 1F0239CC
	v_mfma_f32_16x16x32_fp8_fp8 v[192:195], a[206:207], a[30:31], v[192:195]// 00000000E00C: D3F300C0 1F023DCE
	v_mfma_f32_16x16x32_fp8_fp8 v[204:207], a[208:209], a[24:25], v[204:207]// 00000000E014: D3F300CC 1F3231D0
	buffer_load_dwordx4 a[128:131], v51, s[84:87], 0 offen     // 00000000E01C: E05C1000 80958033
	v_mfma_f32_16x16x32_fp8_fp8 v[204:207], a[210:211], a[26:27], v[204:207]// 00000000E024: D3F300CC 1F3235D2
	v_mfma_f32_16x16x32_fp8_fp8 v[204:207], a[212:213], a[28:29], v[204:207]// 00000000E02C: D3F300CC 1F3239D4
	v_mfma_f32_16x16x32_fp8_fp8 v[204:207], a[214:215], a[30:31], v[204:207]// 00000000E034: D3F300CC 1F323DD6
	v_mfma_f32_16x16x32_fp8_fp8 v[216:219], a[216:217], a[24:25], v[216:219]// 00000000E03C: D3F300D8 1F6231D8
	buffer_load_dwordx4 a[132:135], v51, s[84:87], 0 offen offset:1024// 00000000E044: E05C1400 80958433
	v_mfma_f32_16x16x32_fp8_fp8 v[216:219], a[218:219], a[26:27], v[216:219]// 00000000E04C: D3F300D8 1F6235DA
	v_mfma_f32_16x16x32_fp8_fp8 v[216:219], a[220:221], a[28:29], v[216:219]// 00000000E054: D3F300D8 1F6239DC
	v_mfma_f32_16x16x32_fp8_fp8 v[216:219], a[222:223], a[30:31], v[216:219]// 00000000E05C: D3F300D8 1F623DDE
	v_mfma_f32_16x16x32_fp8_fp8 v[228:231], a[224:225], a[24:25], v[228:231]// 00000000E064: D3F300E4 1F9231E0
	buffer_load_dwordx4 a[136:139], v52, s[84:87], 0 offen     // 00000000E06C: E05C1000 80958834
	v_mfma_f32_16x16x32_fp8_fp8 v[228:231], a[226:227], a[26:27], v[228:231]// 00000000E074: D3F300E4 1F9235E2
	v_mfma_f32_16x16x32_fp8_fp8 v[228:231], a[228:229], a[28:29], v[228:231]// 00000000E07C: D3F300E4 1F9239E4
	v_mfma_f32_16x16x32_fp8_fp8 v[228:231], a[230:231], a[30:31], v[228:231]// 00000000E084: D3F300E4 1F923DE6
	v_mfma_f32_16x16x32_fp8_fp8 v[240:243], a[232:233], a[24:25], v[240:243]// 00000000E08C: D3F300F0 1FC231E8
	buffer_load_dwordx4 a[140:143], v52, s[84:87], 0 offen offset:1024// 00000000E094: E05C1400 80958C34
	v_mfma_f32_16x16x32_fp8_fp8 v[240:243], a[234:235], a[26:27], v[240:243]// 00000000E09C: D3F300F0 1FC235EA
	v_mfma_f32_16x16x32_fp8_fp8 v[240:243], a[236:237], a[28:29], v[240:243]// 00000000E0A4: D3F300F0 1FC239EC
	v_mfma_f32_16x16x32_fp8_fp8 v[240:243], a[238:239], a[30:31], v[240:243]// 00000000E0AC: D3F300F0 1FC23DEE
	v_mfma_f32_16x16x32_fp8_fp8 v[160:163], a[176:177], a[32:33], v[160:163]// 00000000E0B4: D3F300A0 1E8241B0
	buffer_load_dwordx4 a[144:147], v53, s[84:87], 0 offen     // 00000000E0BC: E05C1000 80959035
	v_mfma_f32_16x16x32_fp8_fp8 v[160:163], a[178:179], a[34:35], v[160:163]// 00000000E0C4: D3F300A0 1E8245B2
	v_mfma_f32_16x16x32_fp8_fp8 v[160:163], a[180:181], a[36:37], v[160:163]// 00000000E0CC: D3F300A0 1E8249B4
	v_mfma_f32_16x16x32_fp8_fp8 v[160:163], a[182:183], a[38:39], v[160:163]// 00000000E0D4: D3F300A0 1E824DB6
	v_mfma_f32_16x16x32_fp8_fp8 v[172:175], a[184:185], a[32:33], v[172:175]// 00000000E0DC: D3F300AC 1EB241B8
	buffer_load_dwordx4 a[148:151], v53, s[84:87], 0 offen offset:1024// 00000000E0E4: E05C1400 80959435
	v_mfma_f32_16x16x32_fp8_fp8 v[172:175], a[186:187], a[34:35], v[172:175]// 00000000E0EC: D3F300AC 1EB245BA
	v_mfma_f32_16x16x32_fp8_fp8 v[172:175], a[188:189], a[36:37], v[172:175]// 00000000E0F4: D3F300AC 1EB249BC
	v_mfma_f32_16x16x32_fp8_fp8 v[172:175], a[190:191], a[38:39], v[172:175]// 00000000E0FC: D3F300AC 1EB24DBE
	v_mfma_f32_16x16x32_fp8_fp8 v[184:187], a[192:193], a[32:33], v[184:187]// 00000000E104: D3F300B8 1EE241C0
	buffer_load_dwordx4 a[152:155], v54, s[84:87], 0 offen     // 00000000E10C: E05C1000 80959836
	v_mfma_f32_16x16x32_fp8_fp8 v[184:187], a[194:195], a[34:35], v[184:187]// 00000000E114: D3F300B8 1EE245C2
	v_mfma_f32_16x16x32_fp8_fp8 v[184:187], a[196:197], a[36:37], v[184:187]// 00000000E11C: D3F300B8 1EE249C4
	v_mfma_f32_16x16x32_fp8_fp8 v[184:187], a[198:199], a[38:39], v[184:187]// 00000000E124: D3F300B8 1EE24DC6
	v_mfma_f32_16x16x32_fp8_fp8 v[196:199], a[200:201], a[32:33], v[196:199]// 00000000E12C: D3F300C4 1F1241C8
	buffer_load_dwordx4 a[156:159], v54, s[84:87], 0 offen offset:1024// 00000000E134: E05C1400 80959C36
	v_mfma_f32_16x16x32_fp8_fp8 v[196:199], a[202:203], a[34:35], v[196:199]// 00000000E13C: D3F300C4 1F1245CA
	v_mfma_f32_16x16x32_fp8_fp8 v[196:199], a[204:205], a[36:37], v[196:199]// 00000000E144: D3F300C4 1F1249CC
	v_mfma_f32_16x16x32_fp8_fp8 v[196:199], a[206:207], a[38:39], v[196:199]// 00000000E14C: D3F300C4 1F124DCE
	v_mfma_f32_16x16x32_fp8_fp8 v[208:211], a[208:209], a[32:33], v[208:211]// 00000000E154: D3F300D0 1F4241D0
	buffer_load_dwordx4 a[160:163], v55, s[84:87], 0 offen     // 00000000E15C: E05C1000 8095A037
	v_mfma_f32_16x16x32_fp8_fp8 v[208:211], a[210:211], a[34:35], v[208:211]// 00000000E164: D3F300D0 1F4245D2
	v_mfma_f32_16x16x32_fp8_fp8 v[208:211], a[212:213], a[36:37], v[208:211]// 00000000E16C: D3F300D0 1F4249D4
	v_mfma_f32_16x16x32_fp8_fp8 v[208:211], a[214:215], a[38:39], v[208:211]// 00000000E174: D3F300D0 1F424DD6
	v_mfma_f32_16x16x32_fp8_fp8 v[220:223], a[216:217], a[32:33], v[220:223]// 00000000E17C: D3F300DC 1F7241D8
	buffer_load_dwordx4 a[164:167], v55, s[84:87], 0 offen offset:1024// 00000000E184: E05C1400 8095A437
	v_mfma_f32_16x16x32_fp8_fp8 v[220:223], a[218:219], a[34:35], v[220:223]// 00000000E18C: D3F300DC 1F7245DA
	v_mfma_f32_16x16x32_fp8_fp8 v[220:223], a[220:221], a[36:37], v[220:223]// 00000000E194: D3F300DC 1F7249DC
	v_mfma_f32_16x16x32_fp8_fp8 v[220:223], a[222:223], a[38:39], v[220:223]// 00000000E19C: D3F300DC 1F724DDE
	v_mfma_f32_16x16x32_fp8_fp8 v[232:235], a[224:225], a[32:33], v[232:235]// 00000000E1A4: D3F300E8 1FA241E0
	buffer_load_dwordx4 a[168:171], v56, s[84:87], 0 offen     // 00000000E1AC: E05C1000 8095A838
	v_mfma_f32_16x16x32_fp8_fp8 v[232:235], a[226:227], a[34:35], v[232:235]// 00000000E1B4: D3F300E8 1FA245E2
	v_mfma_f32_16x16x32_fp8_fp8 v[232:235], a[228:229], a[36:37], v[232:235]// 00000000E1BC: D3F300E8 1FA249E4
	v_mfma_f32_16x16x32_fp8_fp8 v[232:235], a[230:231], a[38:39], v[232:235]// 00000000E1C4: D3F300E8 1FA24DE6
	v_mfma_f32_16x16x32_fp8_fp8 v[244:247], a[232:233], a[32:33], v[244:247]// 00000000E1CC: D3F300F4 1FD241E8
	buffer_load_dwordx4 a[172:175], v56, s[84:87], 0 offen offset:1024// 00000000E1D4: E05C1400 8095AC38
	v_mfma_f32_16x16x32_fp8_fp8 v[244:247], a[234:235], a[34:35], v[244:247]// 00000000E1DC: D3F300F4 1FD245EA
	v_mfma_f32_16x16x32_fp8_fp8 v[244:247], a[236:237], a[36:37], v[244:247]// 00000000E1E4: D3F300F4 1FD249EC
	v_mfma_f32_16x16x32_fp8_fp8 v[244:247], a[238:239], a[38:39], v[244:247]// 00000000E1EC: D3F300F4 1FD24DEE
	v_mfma_f32_16x16x32_fp8_fp8 v[164:167], a[176:177], a[40:41], v[164:167]// 00000000E1F4: D3F300A4 1E9251B0
	v_mfma_f32_16x16x32_fp8_fp8 v[164:167], a[178:179], a[42:43], v[164:167]// 00000000E1FC: D3F300A4 1E9255B2
	v_mfma_f32_16x16x32_fp8_fp8 v[164:167], a[180:181], a[44:45], v[164:167]// 00000000E204: D3F300A4 1E9259B4
	v_mfma_f32_16x16x32_fp8_fp8 v[164:167], a[182:183], a[46:47], v[164:167]// 00000000E20C: D3F300A4 1E925DB6
	v_mfma_f32_16x16x32_fp8_fp8 v[176:179], a[184:185], a[40:41], v[176:179]// 00000000E214: D3F300B0 1EC251B8
	v_mfma_f32_16x16x32_fp8_fp8 v[176:179], a[186:187], a[42:43], v[176:179]// 00000000E21C: D3F300B0 1EC255BA
	v_mfma_f32_16x16x32_fp8_fp8 v[176:179], a[188:189], a[44:45], v[176:179]// 00000000E224: D3F300B0 1EC259BC
	v_mfma_f32_16x16x32_fp8_fp8 v[176:179], a[190:191], a[46:47], v[176:179]// 00000000E22C: D3F300B0 1EC25DBE
	v_mfma_f32_16x16x32_fp8_fp8 v[188:191], a[192:193], a[40:41], v[188:191]// 00000000E234: D3F300BC 1EF251C0
	v_mfma_f32_16x16x32_fp8_fp8 v[188:191], a[194:195], a[42:43], v[188:191]// 00000000E23C: D3F300BC 1EF255C2
	v_mfma_f32_16x16x32_fp8_fp8 v[188:191], a[196:197], a[44:45], v[188:191]// 00000000E244: D3F300BC 1EF259C4
	v_mfma_f32_16x16x32_fp8_fp8 v[188:191], a[198:199], a[46:47], v[188:191]// 00000000E24C: D3F300BC 1EF25DC6
	v_mfma_f32_16x16x32_fp8_fp8 v[200:203], a[200:201], a[40:41], v[200:203]// 00000000E254: D3F300C8 1F2251C8
	v_mfma_f32_16x16x32_fp8_fp8 v[200:203], a[202:203], a[42:43], v[200:203]// 00000000E25C: D3F300C8 1F2255CA
	v_mfma_f32_16x16x32_fp8_fp8 v[200:203], a[204:205], a[44:45], v[200:203]// 00000000E264: D3F300C8 1F2259CC
	v_mfma_f32_16x16x32_fp8_fp8 v[200:203], a[206:207], a[46:47], v[200:203]// 00000000E26C: D3F300C8 1F225DCE
	v_mfma_f32_16x16x32_fp8_fp8 v[212:215], a[208:209], a[40:41], v[212:215]// 00000000E274: D3F300D4 1F5251D0
	v_mfma_f32_16x16x32_fp8_fp8 v[212:215], a[210:211], a[42:43], v[212:215]// 00000000E27C: D3F300D4 1F5255D2
	v_mfma_f32_16x16x32_fp8_fp8 v[212:215], a[212:213], a[44:45], v[212:215]// 00000000E284: D3F300D4 1F5259D4
	v_mfma_f32_16x16x32_fp8_fp8 v[212:215], a[214:215], a[46:47], v[212:215]// 00000000E28C: D3F300D4 1F525DD6
	v_mfma_f32_16x16x32_fp8_fp8 v[224:227], a[216:217], a[40:41], v[224:227]// 00000000E294: D3F300E0 1F8251D8
	v_mfma_f32_16x16x32_fp8_fp8 v[224:227], a[218:219], a[42:43], v[224:227]// 00000000E29C: D3F300E0 1F8255DA
	v_mfma_f32_16x16x32_fp8_fp8 v[224:227], a[220:221], a[44:45], v[224:227]// 00000000E2A4: D3F300E0 1F8259DC
	v_mfma_f32_16x16x32_fp8_fp8 v[224:227], a[222:223], a[46:47], v[224:227]// 00000000E2AC: D3F300E0 1F825DDE
	v_mfma_f32_16x16x32_fp8_fp8 v[236:239], a[224:225], a[40:41], v[236:239]// 00000000E2B4: D3F300EC 1FB251E0
	s_add_u32 s60, 0x180, s80                                  // 00000000E2BC: 803C50FF 00000180
	s_cmp_lt_u32 s60, s81                                      // 00000000E2C4: BF0A513C
	s_cselect_b32 s57, s57, 0                                  // 00000000E2C8: 85398039
	v_mfma_f32_16x16x32_fp8_fp8 v[236:239], a[226:227], a[42:43], v[236:239]// 00000000E2CC: D3F300EC 1FB255E2
	s_add_u32 s60, 0x100, s80                                  // 00000000E2D4: 803C50FF 00000100
	s_cmp_lt_u32 s60, s81                                      // 00000000E2DC: BF0A513C
	s_cselect_b32 s58, s58, 0                                  // 00000000E2E0: 853A803A
	v_mfma_f32_16x16x32_fp8_fp8 v[236:239], a[228:229], a[44:45], v[236:239]// 00000000E2E4: D3F300EC 1FB259E4
	s_add_u32 s60, 0x100, s80                                  // 00000000E2EC: 803C50FF 00000100
	s_cmp_lt_u32 s60, s81                                      // 00000000E2F4: BF0A513C
	s_cselect_b32 s83, s83, 0                                  // 00000000E2F8: 85538053
	v_mfma_f32_16x16x32_fp8_fp8 v[236:239], a[230:231], a[46:47], v[236:239]// 00000000E2FC: D3F300EC 1FB25DE6
	s_add_u32 s24, s58, s24                                    // 00000000E304: 8018183A
	s_addc_u32 s25, 0, s25                                     // 00000000E308: 82191980
	v_mfma_f32_16x16x32_fp8_fp8 v[248:251], a[232:233], a[40:41], v[248:251]// 00000000E30C: D3F300F8 1FE251E8
	s_add_u32 s20, s57, s20                                    // 00000000E314: 80141439
	s_addc_u32 s21, 0, s21                                     // 00000000E318: 82151580
	v_mfma_f32_16x16x32_fp8_fp8 v[248:251], a[234:235], a[42:43], v[248:251]// 00000000E31C: D3F300F8 1FE255EA
	s_add_u32 s84, s83, s84                                    // 00000000E324: 80545453
	s_addc_u32 s85, 0, s85                                     // 00000000E328: 82555580
	v_mfma_f32_16x16x32_fp8_fp8 v[248:251], a[236:237], a[44:45], v[248:251]// 00000000E32C: D3F300F8 1FE259EC
	v_mfma_f32_16x16x32_fp8_fp8 v[248:251], a[238:239], a[46:47], v[248:251]// 00000000E334: D3F300F8 1FE25DEE
	s_addk_i32 s80, 0x80                                       // 00000000E33C: B7500080
	s_cmp_lt_i32 s80, s81                                      // 00000000E340: BF045150
	s_cbranch_scc0 label_2E56                                  // 00000000E344: BF840001
	s_branch label_2273                                        // 00000000E348: BF82F41D

000000000000e34c <label_2E56>:
	v_mul_f32_dpp v60, v25, v60 row_newbcast:0 row_mask:0xf bank_mask:0xf// 00000000E34C: 0A7878FA FF015019
	v_mul_f32_dpp v61, v25, v61 row_newbcast:1 row_mask:0xf bank_mask:0xf// 00000000E354: 0A7A7AFA FF015119
	v_mul_f32_dpp v62, v25, v62 row_newbcast:2 row_mask:0xf bank_mask:0xf// 00000000E35C: 0A7C7CFA FF015219
	v_mul_f32_dpp v63, v25, v63 row_newbcast:3 row_mask:0xf bank_mask:0xf// 00000000E364: 0A7E7EFA FF015319
	v_mul_f32_dpp v64, v25, v64 row_newbcast:0 row_mask:0xf bank_mask:0xf// 00000000E36C: 0A8080FA FF015019
	v_mul_f32_dpp v65, v25, v65 row_newbcast:1 row_mask:0xf bank_mask:0xf// 00000000E374: 0A8282FA FF015119
	v_mul_f32_dpp v66, v25, v66 row_newbcast:2 row_mask:0xf bank_mask:0xf// 00000000E37C: 0A8484FA FF015219
	v_mul_f32_dpp v67, v25, v67 row_newbcast:3 row_mask:0xf bank_mask:0xf// 00000000E384: 0A8686FA FF015319
	v_mul_f32_dpp v68, v25, v68 row_newbcast:0 row_mask:0xf bank_mask:0xf// 00000000E38C: 0A8888FA FF015019
	v_mul_f32_dpp v69, v25, v69 row_newbcast:1 row_mask:0xf bank_mask:0xf// 00000000E394: 0A8A8AFA FF015119
	v_mul_f32_dpp v70, v25, v70 row_newbcast:2 row_mask:0xf bank_mask:0xf// 00000000E39C: 0A8C8CFA FF015219
	v_mul_f32_dpp v71, v25, v71 row_newbcast:3 row_mask:0xf bank_mask:0xf// 00000000E3A4: 0A8E8EFA FF015319
	v_mul_f32_dpp v72, v25, v72 row_newbcast:4 row_mask:0xf bank_mask:0xf// 00000000E3AC: 0A9090FA FF015419
	v_mul_f32_dpp v73, v25, v73 row_newbcast:5 row_mask:0xf bank_mask:0xf// 00000000E3B4: 0A9292FA FF015519
	v_mul_f32_dpp v74, v25, v74 row_newbcast:6 row_mask:0xf bank_mask:0xf// 00000000E3BC: 0A9494FA FF015619
	v_mul_f32_dpp v75, v25, v75 row_newbcast:7 row_mask:0xf bank_mask:0xf// 00000000E3C4: 0A9696FA FF015719
	v_mul_f32_dpp v76, v25, v76 row_newbcast:4 row_mask:0xf bank_mask:0xf// 00000000E3CC: 0A9898FA FF015419
	v_mul_f32_dpp v77, v25, v77 row_newbcast:5 row_mask:0xf bank_mask:0xf// 00000000E3D4: 0A9A9AFA FF015519
	v_mul_f32_dpp v78, v25, v78 row_newbcast:6 row_mask:0xf bank_mask:0xf// 00000000E3DC: 0A9C9CFA FF015619
	v_mul_f32_dpp v79, v25, v79 row_newbcast:7 row_mask:0xf bank_mask:0xf// 00000000E3E4: 0A9E9EFA FF015719
	v_mul_f32_dpp v80, v25, v80 row_newbcast:4 row_mask:0xf bank_mask:0xf// 00000000E3EC: 0AA0A0FA FF015419
	v_mul_f32_dpp v81, v25, v81 row_newbcast:5 row_mask:0xf bank_mask:0xf// 00000000E3F4: 0AA2A2FA FF015519
	v_mul_f32_dpp v82, v25, v82 row_newbcast:6 row_mask:0xf bank_mask:0xf// 00000000E3FC: 0AA4A4FA FF015619
	v_mul_f32_dpp v83, v25, v83 row_newbcast:7 row_mask:0xf bank_mask:0xf// 00000000E404: 0AA6A6FA FF015719
	v_mul_f32_dpp v84, v25, v84 row_newbcast:8 row_mask:0xf bank_mask:0xf// 00000000E40C: 0AA8A8FA FF015819
	v_mul_f32_dpp v85, v25, v85 row_newbcast:9 row_mask:0xf bank_mask:0xf// 00000000E414: 0AAAAAFA FF015919
	v_mul_f32_dpp v86, v25, v86 row_newbcast:10 row_mask:0xf bank_mask:0xf// 00000000E41C: 0AACACFA FF015A19
	v_mul_f32_dpp v87, v25, v87 row_newbcast:11 row_mask:0xf bank_mask:0xf// 00000000E424: 0AAEAEFA FF015B19
	v_mul_f32_dpp v88, v25, v88 row_newbcast:8 row_mask:0xf bank_mask:0xf// 00000000E42C: 0AB0B0FA FF015819
	v_mul_f32_dpp v89, v25, v89 row_newbcast:9 row_mask:0xf bank_mask:0xf// 00000000E434: 0AB2B2FA FF015919
	v_mul_f32_dpp v90, v25, v90 row_newbcast:10 row_mask:0xf bank_mask:0xf// 00000000E43C: 0AB4B4FA FF015A19
	v_mul_f32_dpp v91, v25, v91 row_newbcast:11 row_mask:0xf bank_mask:0xf// 00000000E444: 0AB6B6FA FF015B19
	v_mul_f32_dpp v92, v25, v92 row_newbcast:8 row_mask:0xf bank_mask:0xf// 00000000E44C: 0AB8B8FA FF015819
	v_mul_f32_dpp v93, v25, v93 row_newbcast:9 row_mask:0xf bank_mask:0xf// 00000000E454: 0ABABAFA FF015919
	v_mul_f32_dpp v94, v25, v94 row_newbcast:10 row_mask:0xf bank_mask:0xf// 00000000E45C: 0ABCBCFA FF015A19
	v_mul_f32_dpp v95, v25, v95 row_newbcast:11 row_mask:0xf bank_mask:0xf// 00000000E464: 0ABEBEFA FF015B19
	v_mul_f32_dpp v96, v25, v96 row_newbcast:12 row_mask:0xf bank_mask:0xf// 00000000E46C: 0AC0C0FA FF015C19
	v_mul_f32_dpp v97, v25, v97 row_newbcast:13 row_mask:0xf bank_mask:0xf// 00000000E474: 0AC2C2FA FF015D19
	v_mul_f32_dpp v98, v25, v98 row_newbcast:14 row_mask:0xf bank_mask:0xf// 00000000E47C: 0AC4C4FA FF015E19
	v_mul_f32_dpp v99, v25, v99 row_newbcast:15 row_mask:0xf bank_mask:0xf// 00000000E484: 0AC6C6FA FF015F19
	v_mul_f32_dpp v100, v25, v100 row_newbcast:12 row_mask:0xf bank_mask:0xf// 00000000E48C: 0AC8C8FA FF015C19
	v_mul_f32_dpp v101, v25, v101 row_newbcast:13 row_mask:0xf bank_mask:0xf// 00000000E494: 0ACACAFA FF015D19
	v_mul_f32_dpp v102, v25, v102 row_newbcast:14 row_mask:0xf bank_mask:0xf// 00000000E49C: 0ACCCCFA FF015E19
	v_mul_f32_dpp v103, v25, v103 row_newbcast:15 row_mask:0xf bank_mask:0xf// 00000000E4A4: 0ACECEFA FF015F19
	v_mul_f32_dpp v104, v25, v104 row_newbcast:12 row_mask:0xf bank_mask:0xf// 00000000E4AC: 0AD0D0FA FF015C19
	v_mul_f32_dpp v105, v25, v105 row_newbcast:13 row_mask:0xf bank_mask:0xf// 00000000E4B4: 0AD2D2FA FF015D19
	v_mul_f32_dpp v106, v25, v106 row_newbcast:14 row_mask:0xf bank_mask:0xf// 00000000E4BC: 0AD4D4FA FF015E19
	v_mul_f32_dpp v107, v25, v107 row_newbcast:15 row_mask:0xf bank_mask:0xf// 00000000E4C4: 0AD6D6FA FF015F19
	v_mul_f32_dpp v108, v26, v108 row_newbcast:0 row_mask:0xf bank_mask:0xf// 00000000E4CC: 0AD8D8FA FF01501A
	v_mul_f32_dpp v109, v26, v109 row_newbcast:1 row_mask:0xf bank_mask:0xf// 00000000E4D4: 0ADADAFA FF01511A
	v_mul_f32_dpp v110, v26, v110 row_newbcast:2 row_mask:0xf bank_mask:0xf// 00000000E4DC: 0ADCDCFA FF01521A
	v_mul_f32_dpp v111, v26, v111 row_newbcast:3 row_mask:0xf bank_mask:0xf// 00000000E4E4: 0ADEDEFA FF01531A
	v_mul_f32_dpp v112, v26, v112 row_newbcast:0 row_mask:0xf bank_mask:0xf// 00000000E4EC: 0AE0E0FA FF01501A
	v_mul_f32_dpp v113, v26, v113 row_newbcast:1 row_mask:0xf bank_mask:0xf// 00000000E4F4: 0AE2E2FA FF01511A
	v_mul_f32_dpp v114, v26, v114 row_newbcast:2 row_mask:0xf bank_mask:0xf// 00000000E4FC: 0AE4E4FA FF01521A
	v_mul_f32_dpp v115, v26, v115 row_newbcast:3 row_mask:0xf bank_mask:0xf// 00000000E504: 0AE6E6FA FF01531A
	v_mul_f32_dpp v116, v26, v116 row_newbcast:0 row_mask:0xf bank_mask:0xf// 00000000E50C: 0AE8E8FA FF01501A
	v_mul_f32_dpp v117, v26, v117 row_newbcast:1 row_mask:0xf bank_mask:0xf// 00000000E514: 0AEAEAFA FF01511A
	v_mul_f32_dpp v118, v26, v118 row_newbcast:2 row_mask:0xf bank_mask:0xf// 00000000E51C: 0AECECFA FF01521A
	v_mul_f32_dpp v119, v26, v119 row_newbcast:3 row_mask:0xf bank_mask:0xf// 00000000E524: 0AEEEEFA FF01531A
	v_mul_f32_dpp v120, v26, v120 row_newbcast:4 row_mask:0xf bank_mask:0xf// 00000000E52C: 0AF0F0FA FF01541A
	v_mul_f32_dpp v121, v26, v121 row_newbcast:5 row_mask:0xf bank_mask:0xf// 00000000E534: 0AF2F2FA FF01551A
	v_mul_f32_dpp v122, v26, v122 row_newbcast:6 row_mask:0xf bank_mask:0xf// 00000000E53C: 0AF4F4FA FF01561A
	v_mul_f32_dpp v123, v26, v123 row_newbcast:7 row_mask:0xf bank_mask:0xf// 00000000E544: 0AF6F6FA FF01571A
	v_mul_f32_dpp v124, v26, v124 row_newbcast:4 row_mask:0xf bank_mask:0xf// 00000000E54C: 0AF8F8FA FF01541A
	v_mul_f32_dpp v125, v26, v125 row_newbcast:5 row_mask:0xf bank_mask:0xf// 00000000E554: 0AFAFAFA FF01551A
	v_mul_f32_dpp v126, v26, v126 row_newbcast:6 row_mask:0xf bank_mask:0xf// 00000000E55C: 0AFCFCFA FF01561A
	v_mul_f32_dpp v127, v26, v127 row_newbcast:7 row_mask:0xf bank_mask:0xf// 00000000E564: 0AFEFEFA FF01571A
	v_mul_f32_dpp v128, v26, v128 row_newbcast:4 row_mask:0xf bank_mask:0xf// 00000000E56C: 0B0100FA FF01541A
	v_mul_f32_dpp v129, v26, v129 row_newbcast:5 row_mask:0xf bank_mask:0xf// 00000000E574: 0B0302FA FF01551A
	v_mul_f32_dpp v130, v26, v130 row_newbcast:6 row_mask:0xf bank_mask:0xf// 00000000E57C: 0B0504FA FF01561A
	v_mul_f32_dpp v131, v26, v131 row_newbcast:7 row_mask:0xf bank_mask:0xf// 00000000E584: 0B0706FA FF01571A
	v_mul_f32_dpp v132, v26, v132 row_newbcast:8 row_mask:0xf bank_mask:0xf// 00000000E58C: 0B0908FA FF01581A
	v_mul_f32_dpp v133, v26, v133 row_newbcast:9 row_mask:0xf bank_mask:0xf// 00000000E594: 0B0B0AFA FF01591A
	v_mul_f32_dpp v134, v26, v134 row_newbcast:10 row_mask:0xf bank_mask:0xf// 00000000E59C: 0B0D0CFA FF015A1A
	v_mul_f32_dpp v135, v26, v135 row_newbcast:11 row_mask:0xf bank_mask:0xf// 00000000E5A4: 0B0F0EFA FF015B1A
	v_mul_f32_dpp v136, v26, v136 row_newbcast:8 row_mask:0xf bank_mask:0xf// 00000000E5AC: 0B1110FA FF01581A
	v_mul_f32_dpp v137, v26, v137 row_newbcast:9 row_mask:0xf bank_mask:0xf// 00000000E5B4: 0B1312FA FF01591A
	v_mul_f32_dpp v138, v26, v138 row_newbcast:10 row_mask:0xf bank_mask:0xf// 00000000E5BC: 0B1514FA FF015A1A
	v_mul_f32_dpp v139, v26, v139 row_newbcast:11 row_mask:0xf bank_mask:0xf// 00000000E5C4: 0B1716FA FF015B1A
	v_mul_f32_dpp v140, v26, v140 row_newbcast:8 row_mask:0xf bank_mask:0xf// 00000000E5CC: 0B1918FA FF01581A
	v_mul_f32_dpp v141, v26, v141 row_newbcast:9 row_mask:0xf bank_mask:0xf// 00000000E5D4: 0B1B1AFA FF01591A
	v_mul_f32_dpp v142, v26, v142 row_newbcast:10 row_mask:0xf bank_mask:0xf// 00000000E5DC: 0B1D1CFA FF015A1A
	v_mul_f32_dpp v143, v26, v143 row_newbcast:11 row_mask:0xf bank_mask:0xf// 00000000E5E4: 0B1F1EFA FF015B1A
	v_mul_f32_dpp v144, v26, v144 row_newbcast:12 row_mask:0xf bank_mask:0xf// 00000000E5EC: 0B2120FA FF015C1A
	v_mul_f32_dpp v145, v26, v145 row_newbcast:13 row_mask:0xf bank_mask:0xf// 00000000E5F4: 0B2322FA FF015D1A
	v_mul_f32_dpp v146, v26, v146 row_newbcast:14 row_mask:0xf bank_mask:0xf// 00000000E5FC: 0B2524FA FF015E1A
	v_mul_f32_dpp v147, v26, v147 row_newbcast:15 row_mask:0xf bank_mask:0xf// 00000000E604: 0B2726FA FF015F1A
	v_mul_f32_dpp v148, v26, v148 row_newbcast:12 row_mask:0xf bank_mask:0xf// 00000000E60C: 0B2928FA FF015C1A
	v_mul_f32_dpp v149, v26, v149 row_newbcast:13 row_mask:0xf bank_mask:0xf// 00000000E614: 0B2B2AFA FF015D1A
	v_mul_f32_dpp v150, v26, v150 row_newbcast:14 row_mask:0xf bank_mask:0xf// 00000000E61C: 0B2D2CFA FF015E1A
	v_mul_f32_dpp v151, v26, v151 row_newbcast:15 row_mask:0xf bank_mask:0xf// 00000000E624: 0B2F2EFA FF015F1A
	v_mul_f32_dpp v152, v26, v152 row_newbcast:12 row_mask:0xf bank_mask:0xf// 00000000E62C: 0B3130FA FF015C1A
	v_mul_f32_dpp v153, v26, v153 row_newbcast:13 row_mask:0xf bank_mask:0xf// 00000000E634: 0B3332FA FF015D1A
	v_mul_f32_dpp v154, v26, v154 row_newbcast:14 row_mask:0xf bank_mask:0xf// 00000000E63C: 0B3534FA FF015E1A
	v_mul_f32_dpp v155, v26, v155 row_newbcast:15 row_mask:0xf bank_mask:0xf// 00000000E644: 0B3736FA FF015F1A
	v_mul_f32_dpp v156, v28, v156 row_newbcast:0 row_mask:0xf bank_mask:0xf// 00000000E64C: 0B3938FA FF01501C
	v_mul_f32_dpp v157, v28, v157 row_newbcast:1 row_mask:0xf bank_mask:0xf// 00000000E654: 0B3B3AFA FF01511C
	v_mul_f32_dpp v158, v28, v158 row_newbcast:2 row_mask:0xf bank_mask:0xf// 00000000E65C: 0B3D3CFA FF01521C
	v_mul_f32_dpp v159, v28, v159 row_newbcast:3 row_mask:0xf bank_mask:0xf// 00000000E664: 0B3F3EFA FF01531C
	v_mul_f32_dpp v160, v28, v160 row_newbcast:0 row_mask:0xf bank_mask:0xf// 00000000E66C: 0B4140FA FF01501C
	v_mul_f32_dpp v161, v28, v161 row_newbcast:1 row_mask:0xf bank_mask:0xf// 00000000E674: 0B4342FA FF01511C
	v_mul_f32_dpp v162, v28, v162 row_newbcast:2 row_mask:0xf bank_mask:0xf// 00000000E67C: 0B4544FA FF01521C
	v_mul_f32_dpp v163, v28, v163 row_newbcast:3 row_mask:0xf bank_mask:0xf// 00000000E684: 0B4746FA FF01531C
	v_mul_f32_dpp v164, v28, v164 row_newbcast:0 row_mask:0xf bank_mask:0xf// 00000000E68C: 0B4948FA FF01501C
	v_mul_f32_dpp v165, v28, v165 row_newbcast:1 row_mask:0xf bank_mask:0xf// 00000000E694: 0B4B4AFA FF01511C
	v_mul_f32_dpp v166, v28, v166 row_newbcast:2 row_mask:0xf bank_mask:0xf// 00000000E69C: 0B4D4CFA FF01521C
	v_mul_f32_dpp v167, v28, v167 row_newbcast:3 row_mask:0xf bank_mask:0xf// 00000000E6A4: 0B4F4EFA FF01531C
	v_mul_f32_dpp v168, v28, v168 row_newbcast:4 row_mask:0xf bank_mask:0xf// 00000000E6AC: 0B5150FA FF01541C
	v_mul_f32_dpp v169, v28, v169 row_newbcast:5 row_mask:0xf bank_mask:0xf// 00000000E6B4: 0B5352FA FF01551C
	v_mul_f32_dpp v170, v28, v170 row_newbcast:6 row_mask:0xf bank_mask:0xf// 00000000E6BC: 0B5554FA FF01561C
	v_mul_f32_dpp v171, v28, v171 row_newbcast:7 row_mask:0xf bank_mask:0xf// 00000000E6C4: 0B5756FA FF01571C
	v_mul_f32_dpp v172, v28, v172 row_newbcast:4 row_mask:0xf bank_mask:0xf// 00000000E6CC: 0B5958FA FF01541C
	v_mul_f32_dpp v173, v28, v173 row_newbcast:5 row_mask:0xf bank_mask:0xf// 00000000E6D4: 0B5B5AFA FF01551C
	v_mul_f32_dpp v174, v28, v174 row_newbcast:6 row_mask:0xf bank_mask:0xf// 00000000E6DC: 0B5D5CFA FF01561C
	v_mul_f32_dpp v175, v28, v175 row_newbcast:7 row_mask:0xf bank_mask:0xf// 00000000E6E4: 0B5F5EFA FF01571C
	v_mul_f32_dpp v176, v28, v176 row_newbcast:4 row_mask:0xf bank_mask:0xf// 00000000E6EC: 0B6160FA FF01541C
	v_mul_f32_dpp v177, v28, v177 row_newbcast:5 row_mask:0xf bank_mask:0xf// 00000000E6F4: 0B6362FA FF01551C
	v_mul_f32_dpp v178, v28, v178 row_newbcast:6 row_mask:0xf bank_mask:0xf// 00000000E6FC: 0B6564FA FF01561C
	v_mul_f32_dpp v179, v28, v179 row_newbcast:7 row_mask:0xf bank_mask:0xf// 00000000E704: 0B6766FA FF01571C
	v_mul_f32_dpp v180, v28, v180 row_newbcast:8 row_mask:0xf bank_mask:0xf// 00000000E70C: 0B6968FA FF01581C
	v_mul_f32_dpp v181, v28, v181 row_newbcast:9 row_mask:0xf bank_mask:0xf// 00000000E714: 0B6B6AFA FF01591C
	v_mul_f32_dpp v182, v28, v182 row_newbcast:10 row_mask:0xf bank_mask:0xf// 00000000E71C: 0B6D6CFA FF015A1C
	v_mul_f32_dpp v183, v28, v183 row_newbcast:11 row_mask:0xf bank_mask:0xf// 00000000E724: 0B6F6EFA FF015B1C
	v_mul_f32_dpp v184, v28, v184 row_newbcast:8 row_mask:0xf bank_mask:0xf// 00000000E72C: 0B7170FA FF01581C
	v_mul_f32_dpp v185, v28, v185 row_newbcast:9 row_mask:0xf bank_mask:0xf// 00000000E734: 0B7372FA FF01591C
	v_mul_f32_dpp v186, v28, v186 row_newbcast:10 row_mask:0xf bank_mask:0xf// 00000000E73C: 0B7574FA FF015A1C
	v_mul_f32_dpp v187, v28, v187 row_newbcast:11 row_mask:0xf bank_mask:0xf// 00000000E744: 0B7776FA FF015B1C
	v_mul_f32_dpp v188, v28, v188 row_newbcast:8 row_mask:0xf bank_mask:0xf// 00000000E74C: 0B7978FA FF01581C
	v_mul_f32_dpp v189, v28, v189 row_newbcast:9 row_mask:0xf bank_mask:0xf// 00000000E754: 0B7B7AFA FF01591C
	v_mul_f32_dpp v190, v28, v190 row_newbcast:10 row_mask:0xf bank_mask:0xf// 00000000E75C: 0B7D7CFA FF015A1C
	v_mul_f32_dpp v191, v28, v191 row_newbcast:11 row_mask:0xf bank_mask:0xf// 00000000E764: 0B7F7EFA FF015B1C
	v_mul_f32_dpp v192, v28, v192 row_newbcast:12 row_mask:0xf bank_mask:0xf// 00000000E76C: 0B8180FA FF015C1C
	v_mul_f32_dpp v193, v28, v193 row_newbcast:13 row_mask:0xf bank_mask:0xf// 00000000E774: 0B8382FA FF015D1C
	v_mul_f32_dpp v194, v28, v194 row_newbcast:14 row_mask:0xf bank_mask:0xf// 00000000E77C: 0B8584FA FF015E1C
	v_mul_f32_dpp v195, v28, v195 row_newbcast:15 row_mask:0xf bank_mask:0xf// 00000000E784: 0B8786FA FF015F1C
	v_mul_f32_dpp v196, v28, v196 row_newbcast:12 row_mask:0xf bank_mask:0xf// 00000000E78C: 0B8988FA FF015C1C
	v_mul_f32_dpp v197, v28, v197 row_newbcast:13 row_mask:0xf bank_mask:0xf// 00000000E794: 0B8B8AFA FF015D1C
	v_mul_f32_dpp v198, v28, v198 row_newbcast:14 row_mask:0xf bank_mask:0xf// 00000000E79C: 0B8D8CFA FF015E1C
	v_mul_f32_dpp v199, v28, v199 row_newbcast:15 row_mask:0xf bank_mask:0xf// 00000000E7A4: 0B8F8EFA FF015F1C
	v_mul_f32_dpp v200, v28, v200 row_newbcast:12 row_mask:0xf bank_mask:0xf// 00000000E7AC: 0B9190FA FF015C1C
	v_mul_f32_dpp v201, v28, v201 row_newbcast:13 row_mask:0xf bank_mask:0xf// 00000000E7B4: 0B9392FA FF015D1C
	v_mul_f32_dpp v202, v28, v202 row_newbcast:14 row_mask:0xf bank_mask:0xf// 00000000E7BC: 0B9594FA FF015E1C
	v_mul_f32_dpp v203, v28, v203 row_newbcast:15 row_mask:0xf bank_mask:0xf// 00000000E7C4: 0B9796FA FF015F1C
	v_mul_f32_dpp v204, v29, v204 row_newbcast:0 row_mask:0xf bank_mask:0xf// 00000000E7CC: 0B9998FA FF01501D
	v_mul_f32_dpp v205, v29, v205 row_newbcast:1 row_mask:0xf bank_mask:0xf// 00000000E7D4: 0B9B9AFA FF01511D
	v_mul_f32_dpp v206, v29, v206 row_newbcast:2 row_mask:0xf bank_mask:0xf// 00000000E7DC: 0B9D9CFA FF01521D
	v_mul_f32_dpp v207, v29, v207 row_newbcast:3 row_mask:0xf bank_mask:0xf// 00000000E7E4: 0B9F9EFA FF01531D
	v_mul_f32_dpp v208, v29, v208 row_newbcast:0 row_mask:0xf bank_mask:0xf// 00000000E7EC: 0BA1A0FA FF01501D
	v_mul_f32_dpp v209, v29, v209 row_newbcast:1 row_mask:0xf bank_mask:0xf// 00000000E7F4: 0BA3A2FA FF01511D
	v_mul_f32_dpp v210, v29, v210 row_newbcast:2 row_mask:0xf bank_mask:0xf// 00000000E7FC: 0BA5A4FA FF01521D
	v_mul_f32_dpp v211, v29, v211 row_newbcast:3 row_mask:0xf bank_mask:0xf// 00000000E804: 0BA7A6FA FF01531D
	v_mul_f32_dpp v212, v29, v212 row_newbcast:0 row_mask:0xf bank_mask:0xf// 00000000E80C: 0BA9A8FA FF01501D
	v_mul_f32_dpp v213, v29, v213 row_newbcast:1 row_mask:0xf bank_mask:0xf// 00000000E814: 0BABAAFA FF01511D
	v_mul_f32_dpp v214, v29, v214 row_newbcast:2 row_mask:0xf bank_mask:0xf// 00000000E81C: 0BADACFA FF01521D
	v_mul_f32_dpp v215, v29, v215 row_newbcast:3 row_mask:0xf bank_mask:0xf// 00000000E824: 0BAFAEFA FF01531D
	v_mul_f32_dpp v216, v29, v216 row_newbcast:4 row_mask:0xf bank_mask:0xf// 00000000E82C: 0BB1B0FA FF01541D
	v_mul_f32_dpp v217, v29, v217 row_newbcast:5 row_mask:0xf bank_mask:0xf// 00000000E834: 0BB3B2FA FF01551D
	v_mul_f32_dpp v218, v29, v218 row_newbcast:6 row_mask:0xf bank_mask:0xf// 00000000E83C: 0BB5B4FA FF01561D
	v_mul_f32_dpp v219, v29, v219 row_newbcast:7 row_mask:0xf bank_mask:0xf// 00000000E844: 0BB7B6FA FF01571D
	v_mul_f32_dpp v220, v29, v220 row_newbcast:4 row_mask:0xf bank_mask:0xf// 00000000E84C: 0BB9B8FA FF01541D
	v_mul_f32_dpp v221, v29, v221 row_newbcast:5 row_mask:0xf bank_mask:0xf// 00000000E854: 0BBBBAFA FF01551D
	v_mul_f32_dpp v222, v29, v222 row_newbcast:6 row_mask:0xf bank_mask:0xf// 00000000E85C: 0BBDBCFA FF01561D
	v_mul_f32_dpp v223, v29, v223 row_newbcast:7 row_mask:0xf bank_mask:0xf// 00000000E864: 0BBFBEFA FF01571D
	v_mul_f32_dpp v224, v29, v224 row_newbcast:4 row_mask:0xf bank_mask:0xf// 00000000E86C: 0BC1C0FA FF01541D
	v_mul_f32_dpp v225, v29, v225 row_newbcast:5 row_mask:0xf bank_mask:0xf// 00000000E874: 0BC3C2FA FF01551D
	v_mul_f32_dpp v226, v29, v226 row_newbcast:6 row_mask:0xf bank_mask:0xf// 00000000E87C: 0BC5C4FA FF01561D
	v_mul_f32_dpp v227, v29, v227 row_newbcast:7 row_mask:0xf bank_mask:0xf// 00000000E884: 0BC7C6FA FF01571D
	v_mul_f32_dpp v228, v29, v228 row_newbcast:8 row_mask:0xf bank_mask:0xf// 00000000E88C: 0BC9C8FA FF01581D
	v_mul_f32_dpp v229, v29, v229 row_newbcast:9 row_mask:0xf bank_mask:0xf// 00000000E894: 0BCBCAFA FF01591D
	v_mul_f32_dpp v230, v29, v230 row_newbcast:10 row_mask:0xf bank_mask:0xf// 00000000E89C: 0BCDCCFA FF015A1D
	v_mul_f32_dpp v231, v29, v231 row_newbcast:11 row_mask:0xf bank_mask:0xf// 00000000E8A4: 0BCFCEFA FF015B1D
	v_mul_f32_dpp v232, v29, v232 row_newbcast:8 row_mask:0xf bank_mask:0xf// 00000000E8AC: 0BD1D0FA FF01581D
	v_mul_f32_dpp v233, v29, v233 row_newbcast:9 row_mask:0xf bank_mask:0xf// 00000000E8B4: 0BD3D2FA FF01591D
	v_mul_f32_dpp v234, v29, v234 row_newbcast:10 row_mask:0xf bank_mask:0xf// 00000000E8BC: 0BD5D4FA FF015A1D
	v_mul_f32_dpp v235, v29, v235 row_newbcast:11 row_mask:0xf bank_mask:0xf// 00000000E8C4: 0BD7D6FA FF015B1D
	v_mul_f32_dpp v236, v29, v236 row_newbcast:8 row_mask:0xf bank_mask:0xf// 00000000E8CC: 0BD9D8FA FF01581D
	v_mul_f32_dpp v237, v29, v237 row_newbcast:9 row_mask:0xf bank_mask:0xf// 00000000E8D4: 0BDBDAFA FF01591D
	v_mul_f32_dpp v238, v29, v238 row_newbcast:10 row_mask:0xf bank_mask:0xf// 00000000E8DC: 0BDDDCFA FF015A1D
	v_mul_f32_dpp v239, v29, v239 row_newbcast:11 row_mask:0xf bank_mask:0xf// 00000000E8E4: 0BDFDEFA FF015B1D
	v_mul_f32_dpp v240, v29, v240 row_newbcast:12 row_mask:0xf bank_mask:0xf// 00000000E8EC: 0BE1E0FA FF015C1D
	v_mul_f32_dpp v241, v29, v241 row_newbcast:13 row_mask:0xf bank_mask:0xf// 00000000E8F4: 0BE3E2FA FF015D1D
	v_mul_f32_dpp v242, v29, v242 row_newbcast:14 row_mask:0xf bank_mask:0xf// 00000000E8FC: 0BE5E4FA FF015E1D
	v_mul_f32_dpp v243, v29, v243 row_newbcast:15 row_mask:0xf bank_mask:0xf// 00000000E904: 0BE7E6FA FF015F1D
	v_mul_f32_dpp v244, v29, v244 row_newbcast:12 row_mask:0xf bank_mask:0xf// 00000000E90C: 0BE9E8FA FF015C1D
	v_mul_f32_dpp v245, v29, v245 row_newbcast:13 row_mask:0xf bank_mask:0xf// 00000000E914: 0BEBEAFA FF015D1D
	v_mul_f32_dpp v246, v29, v246 row_newbcast:14 row_mask:0xf bank_mask:0xf// 00000000E91C: 0BEDECFA FF015E1D
	v_mul_f32_dpp v247, v29, v247 row_newbcast:15 row_mask:0xf bank_mask:0xf// 00000000E924: 0BEFEEFA FF015F1D
	v_mul_f32_dpp v248, v29, v248 row_newbcast:12 row_mask:0xf bank_mask:0xf// 00000000E92C: 0BF1F0FA FF015C1D
	v_mul_f32_dpp v249, v29, v249 row_newbcast:13 row_mask:0xf bank_mask:0xf// 00000000E934: 0BF3F2FA FF015D1D
	v_mul_f32_dpp v250, v29, v250 row_newbcast:14 row_mask:0xf bank_mask:0xf// 00000000E93C: 0BF5F4FA FF015E1D
	v_mul_f32_dpp v251, v29, v251 row_newbcast:15 row_mask:0xf bank_mask:0xf// 00000000E944: 0BF7F6FA FF015F1D
	v_mul_f32_e32 v34, v34, v252                               // 00000000E94C: 0A45F922
	v_mov_b32_e32 v4, v34                                      // 00000000E950: 7E080322
	v_mov_b32_e32 v5, v4                                       // 00000000E954: 7E0A0304
	v_pk_mul_f32 v[60:61], v[4:5], v[60:61]                    // 00000000E958: D3B1403C 18027904
	v_pk_mul_f32 v[156:157], v[4:5], v[156:157]                // 00000000E960: D3B1409C 18033904
	v_pk_mul_f32 v[62:63], v[4:5], v[62:63]                    // 00000000E968: D3B1403E 18027D04
	v_pk_mul_f32 v[158:159], v[4:5], v[158:159]                // 00000000E970: D3B1409E 18033D04
	v_pk_mul_f32 v[72:73], v[4:5], v[72:73]                    // 00000000E978: D3B14048 18029104
	v_pk_mul_f32 v[168:169], v[4:5], v[168:169]                // 00000000E980: D3B140A8 18035104
	v_pk_mul_f32 v[74:75], v[4:5], v[74:75]                    // 00000000E988: D3B1404A 18029504
	v_pk_mul_f32 v[170:171], v[4:5], v[170:171]                // 00000000E990: D3B140AA 18035504
	v_pk_mul_f32 v[84:85], v[4:5], v[84:85]                    // 00000000E998: D3B14054 1802A904
	v_pk_mul_f32 v[180:181], v[4:5], v[180:181]                // 00000000E9A0: D3B140B4 18036904
	v_pk_mul_f32 v[86:87], v[4:5], v[86:87]                    // 00000000E9A8: D3B14056 1802AD04
	v_pk_mul_f32 v[182:183], v[4:5], v[182:183]                // 00000000E9B0: D3B140B6 18036D04
	v_pk_mul_f32 v[96:97], v[4:5], v[96:97]                    // 00000000E9B8: D3B14060 1802C104
	v_pk_mul_f32 v[192:193], v[4:5], v[192:193]                // 00000000E9C0: D3B140C0 18038104
	v_pk_mul_f32 v[98:99], v[4:5], v[98:99]                    // 00000000E9C8: D3B14062 1802C504
	v_pk_mul_f32 v[194:195], v[4:5], v[194:195]                // 00000000E9D0: D3B140C2 18038504
	v_pk_mul_f32 v[108:109], v[4:5], v[108:109]                // 00000000E9D8: D3B1406C 1802D904
	v_pk_mul_f32 v[204:205], v[4:5], v[204:205]                // 00000000E9E0: D3B140CC 18039904
	v_pk_mul_f32 v[110:111], v[4:5], v[110:111]                // 00000000E9E8: D3B1406E 1802DD04
	v_pk_mul_f32 v[206:207], v[4:5], v[206:207]                // 00000000E9F0: D3B140CE 18039D04
	v_pk_mul_f32 v[120:121], v[4:5], v[120:121]                // 00000000E9F8: D3B14078 1802F104
	v_pk_mul_f32 v[216:217], v[4:5], v[216:217]                // 00000000EA00: D3B140D8 1803B104
	v_pk_mul_f32 v[122:123], v[4:5], v[122:123]                // 00000000EA08: D3B1407A 1802F504
	v_pk_mul_f32 v[218:219], v[4:5], v[218:219]                // 00000000EA10: D3B140DA 1803B504
	v_pk_mul_f32 v[132:133], v[4:5], v[132:133]                // 00000000EA18: D3B14084 18030904
	v_pk_mul_f32 v[228:229], v[4:5], v[228:229]                // 00000000EA20: D3B140E4 1803C904
	v_pk_mul_f32 v[134:135], v[4:5], v[134:135]                // 00000000EA28: D3B14086 18030D04
	v_pk_mul_f32 v[230:231], v[4:5], v[230:231]                // 00000000EA30: D3B140E6 1803CD04
	v_pk_mul_f32 v[144:145], v[4:5], v[144:145]                // 00000000EA38: D3B14090 18032104
	v_pk_mul_f32 v[240:241], v[4:5], v[240:241]                // 00000000EA40: D3B140F0 1803E104
	v_pk_mul_f32 v[146:147], v[4:5], v[146:147]                // 00000000EA48: D3B14092 18032504
	v_pk_mul_f32 v[242:243], v[4:5], v[242:243]                // 00000000EA50: D3B140F2 1803E504
	v_mul_f32_e32 v35, v35, v253                               // 00000000EA58: 0A47FB23
	v_mov_b32_e32 v4, v35                                      // 00000000EA5C: 7E080323
	v_mov_b32_e32 v5, v4                                       // 00000000EA60: 7E0A0304
	v_pk_mul_f32 v[64:65], v[4:5], v[64:65]                    // 00000000EA64: D3B14040 18028104
	v_pk_mul_f32 v[160:161], v[4:5], v[160:161]                // 00000000EA6C: D3B140A0 18034104
	v_pk_mul_f32 v[66:67], v[4:5], v[66:67]                    // 00000000EA74: D3B14042 18028504
	v_pk_mul_f32 v[162:163], v[4:5], v[162:163]                // 00000000EA7C: D3B140A2 18034504
	v_pk_mul_f32 v[76:77], v[4:5], v[76:77]                    // 00000000EA84: D3B1404C 18029904
	v_pk_mul_f32 v[172:173], v[4:5], v[172:173]                // 00000000EA8C: D3B140AC 18035904
	v_pk_mul_f32 v[78:79], v[4:5], v[78:79]                    // 00000000EA94: D3B1404E 18029D04
	v_pk_mul_f32 v[174:175], v[4:5], v[174:175]                // 00000000EA9C: D3B140AE 18035D04
	v_pk_mul_f32 v[88:89], v[4:5], v[88:89]                    // 00000000EAA4: D3B14058 1802B104
	v_pk_mul_f32 v[184:185], v[4:5], v[184:185]                // 00000000EAAC: D3B140B8 18037104
	v_pk_mul_f32 v[90:91], v[4:5], v[90:91]                    // 00000000EAB4: D3B1405A 1802B504
	v_pk_mul_f32 v[186:187], v[4:5], v[186:187]                // 00000000EABC: D3B140BA 18037504
	v_pk_mul_f32 v[100:101], v[4:5], v[100:101]                // 00000000EAC4: D3B14064 1802C904
	v_pk_mul_f32 v[196:197], v[4:5], v[196:197]                // 00000000EACC: D3B140C4 18038904
	v_pk_mul_f32 v[102:103], v[4:5], v[102:103]                // 00000000EAD4: D3B14066 1802CD04
	v_pk_mul_f32 v[198:199], v[4:5], v[198:199]                // 00000000EADC: D3B140C6 18038D04
	v_pk_mul_f32 v[112:113], v[4:5], v[112:113]                // 00000000EAE4: D3B14070 1802E104
	v_pk_mul_f32 v[208:209], v[4:5], v[208:209]                // 00000000EAEC: D3B140D0 1803A104
	v_pk_mul_f32 v[114:115], v[4:5], v[114:115]                // 00000000EAF4: D3B14072 1802E504
	v_pk_mul_f32 v[210:211], v[4:5], v[210:211]                // 00000000EAFC: D3B140D2 1803A504
	v_pk_mul_f32 v[124:125], v[4:5], v[124:125]                // 00000000EB04: D3B1407C 1802F904
	v_pk_mul_f32 v[220:221], v[4:5], v[220:221]                // 00000000EB0C: D3B140DC 1803B904
	v_pk_mul_f32 v[126:127], v[4:5], v[126:127]                // 00000000EB14: D3B1407E 1802FD04
	v_pk_mul_f32 v[222:223], v[4:5], v[222:223]                // 00000000EB1C: D3B140DE 1803BD04
	v_pk_mul_f32 v[136:137], v[4:5], v[136:137]                // 00000000EB24: D3B14088 18031104
	v_pk_mul_f32 v[232:233], v[4:5], v[232:233]                // 00000000EB2C: D3B140E8 1803D104
	v_pk_mul_f32 v[138:139], v[4:5], v[138:139]                // 00000000EB34: D3B1408A 18031504
	v_pk_mul_f32 v[234:235], v[4:5], v[234:235]                // 00000000EB3C: D3B140EA 1803D504
	v_pk_mul_f32 v[148:149], v[4:5], v[148:149]                // 00000000EB44: D3B14094 18032904
	v_pk_mul_f32 v[244:245], v[4:5], v[244:245]                // 00000000EB4C: D3B140F4 1803E904
	v_pk_mul_f32 v[150:151], v[4:5], v[150:151]                // 00000000EB54: D3B14096 18032D04
	v_pk_mul_f32 v[246:247], v[4:5], v[246:247]                // 00000000EB5C: D3B140F6 1803ED04
	v_mul_f32_e32 v36, v36, v254                               // 00000000EB64: 0A49FD24
	v_mov_b32_e32 v4, v36                                      // 00000000EB68: 7E080324
	v_mov_b32_e32 v5, v4                                       // 00000000EB6C: 7E0A0304
	v_pk_mul_f32 v[68:69], v[4:5], v[68:69]                    // 00000000EB70: D3B14044 18028904
	v_pk_mul_f32 v[164:165], v[4:5], v[164:165]                // 00000000EB78: D3B140A4 18034904
	v_pk_mul_f32 v[70:71], v[4:5], v[70:71]                    // 00000000EB80: D3B14046 18028D04
	v_pk_mul_f32 v[166:167], v[4:5], v[166:167]                // 00000000EB88: D3B140A6 18034D04
	v_pk_mul_f32 v[80:81], v[4:5], v[80:81]                    // 00000000EB90: D3B14050 1802A104
	v_pk_mul_f32 v[176:177], v[4:5], v[176:177]                // 00000000EB98: D3B140B0 18036104
	v_pk_mul_f32 v[82:83], v[4:5], v[82:83]                    // 00000000EBA0: D3B14052 1802A504
	v_pk_mul_f32 v[178:179], v[4:5], v[178:179]                // 00000000EBA8: D3B140B2 18036504
	v_pk_mul_f32 v[92:93], v[4:5], v[92:93]                    // 00000000EBB0: D3B1405C 1802B904
	v_pk_mul_f32 v[188:189], v[4:5], v[188:189]                // 00000000EBB8: D3B140BC 18037904
	v_pk_mul_f32 v[94:95], v[4:5], v[94:95]                    // 00000000EBC0: D3B1405E 1802BD04
	v_pk_mul_f32 v[190:191], v[4:5], v[190:191]                // 00000000EBC8: D3B140BE 18037D04
	v_pk_mul_f32 v[104:105], v[4:5], v[104:105]                // 00000000EBD0: D3B14068 1802D104
	v_pk_mul_f32 v[200:201], v[4:5], v[200:201]                // 00000000EBD8: D3B140C8 18039104
	v_pk_mul_f32 v[106:107], v[4:5], v[106:107]                // 00000000EBE0: D3B1406A 1802D504
	v_pk_mul_f32 v[202:203], v[4:5], v[202:203]                // 00000000EBE8: D3B140CA 18039504
	v_pk_mul_f32 v[116:117], v[4:5], v[116:117]                // 00000000EBF0: D3B14074 1802E904
	v_pk_mul_f32 v[212:213], v[4:5], v[212:213]                // 00000000EBF8: D3B140D4 1803A904
	v_pk_mul_f32 v[118:119], v[4:5], v[118:119]                // 00000000EC00: D3B14076 1802ED04
	v_pk_mul_f32 v[214:215], v[4:5], v[214:215]                // 00000000EC08: D3B140D6 1803AD04
	v_pk_mul_f32 v[128:129], v[4:5], v[128:129]                // 00000000EC10: D3B14080 18030104
	v_pk_mul_f32 v[224:225], v[4:5], v[224:225]                // 00000000EC18: D3B140E0 1803C104
	v_pk_mul_f32 v[130:131], v[4:5], v[130:131]                // 00000000EC20: D3B14082 18030504
	v_pk_mul_f32 v[226:227], v[4:5], v[226:227]                // 00000000EC28: D3B140E2 1803C504
	v_pk_mul_f32 v[140:141], v[4:5], v[140:141]                // 00000000EC30: D3B1408C 18031904
	v_pk_mul_f32 v[236:237], v[4:5], v[236:237]                // 00000000EC38: D3B140EC 1803D904
	v_pk_mul_f32 v[142:143], v[4:5], v[142:143]                // 00000000EC40: D3B1408E 18031D04
	v_pk_mul_f32 v[238:239], v[4:5], v[238:239]                // 00000000EC48: D3B140EE 1803DD04
	v_pk_mul_f32 v[152:153], v[4:5], v[152:153]                // 00000000EC50: D3B14098 18033104
	v_pk_mul_f32 v[248:249], v[4:5], v[248:249]                // 00000000EC58: D3B140F8 1803F104
	v_pk_mul_f32 v[154:155], v[4:5], v[154:155]                // 00000000EC60: D3B1409A 18033504
	v_pk_mul_f32 v[250:251], v[4:5], v[250:251]                // 00000000EC68: D3B140FA 1803F504
	s_cmp_eq_u32 s88, 0                                        // 00000000EC70: BF068058
	s_cbranch_scc0 label_3BF6                                  // 00000000EC74: BF840B55
	s_cmp_eq_u32 s89, 0                                        // 00000000EC78: BF068059
	s_cbranch_scc1 label_3468                                  // 00000000EC7C: BF8503C5
	v_mov_b32_e32 v8, v1                                       // 00000000EC80: 7E100301
	v_mov_b32_e32 v9, v1                                       // 00000000EC84: 7E120301
	s_mov_b32 s60, s6                                          // 00000000EC88: BEBC0006
	s_mov_b32 s61, s6                                          // 00000000EC8C: BEBD0006
	v_pk_mul_f32 v[4:5], v[60:61], v[60:61]                    // 00000000EC90: D3B14004 1802793C
	v_pk_mul_f32 v[6:7], v[62:63], v[62:63]                    // 00000000EC98: D3B14006 18027D3E
	v_pk_fma_f32 v[4:5], v[4:5], s[78:79], v[8:9]              // 00000000ECA0: D3B04004 1C209D04
	v_pk_fma_f32 v[6:7], v[6:7], s[78:79], v[8:9]              // 00000000ECA8: D3B04006 1C209D06
	v_pk_mul_f32 v[4:5], v[4:5], v[60:61]                      // 00000000ECB0: D3B14004 18027904
	v_pk_mul_f32 v[6:7], v[6:7], v[62:63]                      // 00000000ECB8: D3B14006 18027D06
	v_pk_mul_f32 v[4:5], v[4:5], s[60:61]                      // 00000000ECC0: D3B14004 18007904
	v_pk_mul_f32 v[6:7], v[6:7], s[60:61]                      // 00000000ECC8: D3B14006 18007906
	v_exp_f32_e32 v4, v4                                       // 00000000ECD0: 7E084104
	v_exp_f32_e32 v5, v5                                       // 00000000ECD4: 7E0A4105
	v_exp_f32_e32 v6, v6                                       // 00000000ECD8: 7E0C4106
	v_exp_f32_e32 v7, v7                                       // 00000000ECDC: 7E0E4107
	v_add_f32_e64 v4, v4, 1.0                                  // 00000000ECE0: D1010004 0001E504
	v_add_f32_e64 v5, v5, 1.0                                  // 00000000ECE8: D1010005 0001E505
	v_add_f32_e64 v6, v6, 1.0                                  // 00000000ECF0: D1010006 0001E506
	v_add_f32_e64 v7, v7, 1.0                                  // 00000000ECF8: D1010007 0001E507
	v_rcp_f32_e32 v4, v4                                       // 00000000ED00: 7E084504
	v_rcp_f32_e32 v5, v5                                       // 00000000ED04: 7E0A4505
	v_rcp_f32_e32 v6, v6                                       // 00000000ED08: 7E0C4506
	v_rcp_f32_e32 v7, v7                                       // 00000000ED0C: 7E0E4507
	v_mul_f32_e32 v60, v60, v4                                 // 00000000ED10: 0A78093C
	v_mul_f32_e32 v61, v61, v5                                 // 00000000ED14: 0A7A0B3D
	v_mul_f32_e32 v62, v62, v6                                 // 00000000ED18: 0A7C0D3E
	v_mul_f32_e32 v63, v63, v7                                 // 00000000ED1C: 0A7E0F3F
	v_mul_f32_e32 v60, v60, v156                               // 00000000ED20: 0A79393C
	v_mul_f32_e32 v61, v61, v157                               // 00000000ED24: 0A7B3B3D
	v_mul_f32_e32 v62, v62, v158                               // 00000000ED28: 0A7D3D3E
	v_mul_f32_e32 v63, v63, v159                               // 00000000ED2C: 0A7F3F3F
	v_pk_mul_f32 v[4:5], v[64:65], v[64:65]                    // 00000000ED30: D3B14004 18028140
	v_pk_mul_f32 v[6:7], v[66:67], v[66:67]                    // 00000000ED38: D3B14006 18028542
	v_pk_fma_f32 v[4:5], v[4:5], s[78:79], v[8:9]              // 00000000ED40: D3B04004 1C209D04
	v_pk_fma_f32 v[6:7], v[6:7], s[78:79], v[8:9]              // 00000000ED48: D3B04006 1C209D06
	v_pk_mul_f32 v[4:5], v[4:5], v[64:65]                      // 00000000ED50: D3B14004 18028104
	v_pk_mul_f32 v[6:7], v[6:7], v[66:67]                      // 00000000ED58: D3B14006 18028506
	v_pk_mul_f32 v[4:5], v[4:5], s[60:61]                      // 00000000ED60: D3B14004 18007904
	v_pk_mul_f32 v[6:7], v[6:7], s[60:61]                      // 00000000ED68: D3B14006 18007906
	v_exp_f32_e32 v4, v4                                       // 00000000ED70: 7E084104
	v_exp_f32_e32 v5, v5                                       // 00000000ED74: 7E0A4105
	v_exp_f32_e32 v6, v6                                       // 00000000ED78: 7E0C4106
	v_exp_f32_e32 v7, v7                                       // 00000000ED7C: 7E0E4107
	v_add_f32_e64 v4, v4, 1.0                                  // 00000000ED80: D1010004 0001E504
	v_add_f32_e64 v5, v5, 1.0                                  // 00000000ED88: D1010005 0001E505
	v_add_f32_e64 v6, v6, 1.0                                  // 00000000ED90: D1010006 0001E506
	v_add_f32_e64 v7, v7, 1.0                                  // 00000000ED98: D1010007 0001E507
	v_rcp_f32_e32 v4, v4                                       // 00000000EDA0: 7E084504
	v_rcp_f32_e32 v5, v5                                       // 00000000EDA4: 7E0A4505
	v_rcp_f32_e32 v6, v6                                       // 00000000EDA8: 7E0C4506
	v_rcp_f32_e32 v7, v7                                       // 00000000EDAC: 7E0E4507
	v_mul_f32_e32 v64, v64, v4                                 // 00000000EDB0: 0A800940
	v_mul_f32_e32 v65, v65, v5                                 // 00000000EDB4: 0A820B41
	v_mul_f32_e32 v66, v66, v6                                 // 00000000EDB8: 0A840D42
	v_mul_f32_e32 v67, v67, v7                                 // 00000000EDBC: 0A860F43
	v_mul_f32_e32 v64, v64, v160                               // 00000000EDC0: 0A814140
	v_mul_f32_e32 v65, v65, v161                               // 00000000EDC4: 0A834341
	v_mul_f32_e32 v66, v66, v162                               // 00000000EDC8: 0A854542
	v_mul_f32_e32 v67, v67, v163                               // 00000000EDCC: 0A874743
	v_pk_mul_f32 v[4:5], v[68:69], v[68:69]                    // 00000000EDD0: D3B14004 18028944
	v_pk_mul_f32 v[6:7], v[70:71], v[70:71]                    // 00000000EDD8: D3B14006 18028D46
	v_pk_fma_f32 v[4:5], v[4:5], s[78:79], v[8:9]              // 00000000EDE0: D3B04004 1C209D04
	v_pk_fma_f32 v[6:7], v[6:7], s[78:79], v[8:9]              // 00000000EDE8: D3B04006 1C209D06
	v_pk_mul_f32 v[4:5], v[4:5], v[68:69]                      // 00000000EDF0: D3B14004 18028904
	v_pk_mul_f32 v[6:7], v[6:7], v[70:71]                      // 00000000EDF8: D3B14006 18028D06
	v_pk_mul_f32 v[4:5], v[4:5], s[60:61]                      // 00000000EE00: D3B14004 18007904
	v_pk_mul_f32 v[6:7], v[6:7], s[60:61]                      // 00000000EE08: D3B14006 18007906
	v_exp_f32_e32 v4, v4                                       // 00000000EE10: 7E084104
	v_exp_f32_e32 v5, v5                                       // 00000000EE14: 7E0A4105
	v_exp_f32_e32 v6, v6                                       // 00000000EE18: 7E0C4106
	v_exp_f32_e32 v7, v7                                       // 00000000EE1C: 7E0E4107
	v_add_f32_e64 v4, v4, 1.0                                  // 00000000EE20: D1010004 0001E504
	v_add_f32_e64 v5, v5, 1.0                                  // 00000000EE28: D1010005 0001E505
	v_add_f32_e64 v6, v6, 1.0                                  // 00000000EE30: D1010006 0001E506
	v_add_f32_e64 v7, v7, 1.0                                  // 00000000EE38: D1010007 0001E507
	v_rcp_f32_e32 v4, v4                                       // 00000000EE40: 7E084504
	v_rcp_f32_e32 v5, v5                                       // 00000000EE44: 7E0A4505
	v_rcp_f32_e32 v6, v6                                       // 00000000EE48: 7E0C4506
	v_rcp_f32_e32 v7, v7                                       // 00000000EE4C: 7E0E4507
	v_mul_f32_e32 v68, v68, v4                                 // 00000000EE50: 0A880944
	v_mul_f32_e32 v69, v69, v5                                 // 00000000EE54: 0A8A0B45
	v_mul_f32_e32 v70, v70, v6                                 // 00000000EE58: 0A8C0D46
	v_mul_f32_e32 v71, v71, v7                                 // 00000000EE5C: 0A8E0F47
	v_mul_f32_e32 v68, v68, v164                               // 00000000EE60: 0A894944
	v_mul_f32_e32 v69, v69, v165                               // 00000000EE64: 0A8B4B45
	v_mul_f32_e32 v70, v70, v166                               // 00000000EE68: 0A8D4D46
	v_mul_f32_e32 v71, v71, v167                               // 00000000EE6C: 0A8F4F47
	v_pk_mul_f32 v[4:5], v[72:73], v[72:73]                    // 00000000EE70: D3B14004 18029148
	v_pk_mul_f32 v[6:7], v[74:75], v[74:75]                    // 00000000EE78: D3B14006 1802954A
	v_pk_fma_f32 v[4:5], v[4:5], s[78:79], v[8:9]              // 00000000EE80: D3B04004 1C209D04
	v_pk_fma_f32 v[6:7], v[6:7], s[78:79], v[8:9]              // 00000000EE88: D3B04006 1C209D06
	v_pk_mul_f32 v[4:5], v[4:5], v[72:73]                      // 00000000EE90: D3B14004 18029104
	v_pk_mul_f32 v[6:7], v[6:7], v[74:75]                      // 00000000EE98: D3B14006 18029506
	v_pk_mul_f32 v[4:5], v[4:5], s[60:61]                      // 00000000EEA0: D3B14004 18007904
	v_pk_mul_f32 v[6:7], v[6:7], s[60:61]                      // 00000000EEA8: D3B14006 18007906
	v_exp_f32_e32 v4, v4                                       // 00000000EEB0: 7E084104
	v_exp_f32_e32 v5, v5                                       // 00000000EEB4: 7E0A4105
	v_exp_f32_e32 v6, v6                                       // 00000000EEB8: 7E0C4106
	v_exp_f32_e32 v7, v7                                       // 00000000EEBC: 7E0E4107
	v_add_f32_e64 v4, v4, 1.0                                  // 00000000EEC0: D1010004 0001E504
	v_add_f32_e64 v5, v5, 1.0                                  // 00000000EEC8: D1010005 0001E505
	v_add_f32_e64 v6, v6, 1.0                                  // 00000000EED0: D1010006 0001E506
	v_add_f32_e64 v7, v7, 1.0                                  // 00000000EED8: D1010007 0001E507
	v_rcp_f32_e32 v4, v4                                       // 00000000EEE0: 7E084504
	v_rcp_f32_e32 v5, v5                                       // 00000000EEE4: 7E0A4505
	v_rcp_f32_e32 v6, v6                                       // 00000000EEE8: 7E0C4506
	v_rcp_f32_e32 v7, v7                                       // 00000000EEEC: 7E0E4507
	v_mul_f32_e32 v72, v72, v4                                 // 00000000EEF0: 0A900948
	v_mul_f32_e32 v73, v73, v5                                 // 00000000EEF4: 0A920B49
	v_mul_f32_e32 v74, v74, v6                                 // 00000000EEF8: 0A940D4A
	v_mul_f32_e32 v75, v75, v7                                 // 00000000EEFC: 0A960F4B
	v_mul_f32_e32 v72, v72, v168                               // 00000000EF00: 0A915148
	v_mul_f32_e32 v73, v73, v169                               // 00000000EF04: 0A935349
	v_mul_f32_e32 v74, v74, v170                               // 00000000EF08: 0A95554A
	v_mul_f32_e32 v75, v75, v171                               // 00000000EF0C: 0A97574B
	v_pk_mul_f32 v[4:5], v[76:77], v[76:77]                    // 00000000EF10: D3B14004 1802994C
	v_pk_mul_f32 v[6:7], v[78:79], v[78:79]                    // 00000000EF18: D3B14006 18029D4E
	v_pk_fma_f32 v[4:5], v[4:5], s[78:79], v[8:9]              // 00000000EF20: D3B04004 1C209D04
	v_pk_fma_f32 v[6:7], v[6:7], s[78:79], v[8:9]              // 00000000EF28: D3B04006 1C209D06
	v_pk_mul_f32 v[4:5], v[4:5], v[76:77]                      // 00000000EF30: D3B14004 18029904
	v_pk_mul_f32 v[6:7], v[6:7], v[78:79]                      // 00000000EF38: D3B14006 18029D06
	v_pk_mul_f32 v[4:5], v[4:5], s[60:61]                      // 00000000EF40: D3B14004 18007904
	v_pk_mul_f32 v[6:7], v[6:7], s[60:61]                      // 00000000EF48: D3B14006 18007906
	v_exp_f32_e32 v4, v4                                       // 00000000EF50: 7E084104
	v_exp_f32_e32 v5, v5                                       // 00000000EF54: 7E0A4105
	v_exp_f32_e32 v6, v6                                       // 00000000EF58: 7E0C4106
	v_exp_f32_e32 v7, v7                                       // 00000000EF5C: 7E0E4107
	v_add_f32_e64 v4, v4, 1.0                                  // 00000000EF60: D1010004 0001E504
	v_add_f32_e64 v5, v5, 1.0                                  // 00000000EF68: D1010005 0001E505
	v_add_f32_e64 v6, v6, 1.0                                  // 00000000EF70: D1010006 0001E506
	v_add_f32_e64 v7, v7, 1.0                                  // 00000000EF78: D1010007 0001E507
	v_rcp_f32_e32 v4, v4                                       // 00000000EF80: 7E084504
	v_rcp_f32_e32 v5, v5                                       // 00000000EF84: 7E0A4505
	v_rcp_f32_e32 v6, v6                                       // 00000000EF88: 7E0C4506
	v_rcp_f32_e32 v7, v7                                       // 00000000EF8C: 7E0E4507
	v_mul_f32_e32 v76, v76, v4                                 // 00000000EF90: 0A98094C
	v_mul_f32_e32 v77, v77, v5                                 // 00000000EF94: 0A9A0B4D
	v_mul_f32_e32 v78, v78, v6                                 // 00000000EF98: 0A9C0D4E
	v_mul_f32_e32 v79, v79, v7                                 // 00000000EF9C: 0A9E0F4F
	v_mul_f32_e32 v76, v76, v172                               // 00000000EFA0: 0A99594C
	v_mul_f32_e32 v77, v77, v173                               // 00000000EFA4: 0A9B5B4D
	v_mul_f32_e32 v78, v78, v174                               // 00000000EFA8: 0A9D5D4E
	v_mul_f32_e32 v79, v79, v175                               // 00000000EFAC: 0A9F5F4F
	v_pk_mul_f32 v[4:5], v[80:81], v[80:81]                    // 00000000EFB0: D3B14004 1802A150
	v_pk_mul_f32 v[6:7], v[82:83], v[82:83]                    // 00000000EFB8: D3B14006 1802A552
	v_pk_fma_f32 v[4:5], v[4:5], s[78:79], v[8:9]              // 00000000EFC0: D3B04004 1C209D04
	v_pk_fma_f32 v[6:7], v[6:7], s[78:79], v[8:9]              // 00000000EFC8: D3B04006 1C209D06
	v_pk_mul_f32 v[4:5], v[4:5], v[80:81]                      // 00000000EFD0: D3B14004 1802A104
	v_pk_mul_f32 v[6:7], v[6:7], v[82:83]                      // 00000000EFD8: D3B14006 1802A506
	v_pk_mul_f32 v[4:5], v[4:5], s[60:61]                      // 00000000EFE0: D3B14004 18007904
	v_pk_mul_f32 v[6:7], v[6:7], s[60:61]                      // 00000000EFE8: D3B14006 18007906
	v_exp_f32_e32 v4, v4                                       // 00000000EFF0: 7E084104
	v_exp_f32_e32 v5, v5                                       // 00000000EFF4: 7E0A4105
	v_exp_f32_e32 v6, v6                                       // 00000000EFF8: 7E0C4106
	v_exp_f32_e32 v7, v7                                       // 00000000EFFC: 7E0E4107
	v_add_f32_e64 v4, v4, 1.0                                  // 00000000F000: D1010004 0001E504
	v_add_f32_e64 v5, v5, 1.0                                  // 00000000F008: D1010005 0001E505
	v_add_f32_e64 v6, v6, 1.0                                  // 00000000F010: D1010006 0001E506
	v_add_f32_e64 v7, v7, 1.0                                  // 00000000F018: D1010007 0001E507
	v_rcp_f32_e32 v4, v4                                       // 00000000F020: 7E084504
	v_rcp_f32_e32 v5, v5                                       // 00000000F024: 7E0A4505
	v_rcp_f32_e32 v6, v6                                       // 00000000F028: 7E0C4506
	v_rcp_f32_e32 v7, v7                                       // 00000000F02C: 7E0E4507
	v_mul_f32_e32 v80, v80, v4                                 // 00000000F030: 0AA00950
	v_mul_f32_e32 v81, v81, v5                                 // 00000000F034: 0AA20B51
	v_mul_f32_e32 v82, v82, v6                                 // 00000000F038: 0AA40D52
	v_mul_f32_e32 v83, v83, v7                                 // 00000000F03C: 0AA60F53
	v_mul_f32_e32 v80, v80, v176                               // 00000000F040: 0AA16150
	v_mul_f32_e32 v81, v81, v177                               // 00000000F044: 0AA36351
	v_mul_f32_e32 v82, v82, v178                               // 00000000F048: 0AA56552
	v_mul_f32_e32 v83, v83, v179                               // 00000000F04C: 0AA76753
	v_pk_mul_f32 v[4:5], v[84:85], v[84:85]                    // 00000000F050: D3B14004 1802A954
	v_pk_mul_f32 v[6:7], v[86:87], v[86:87]                    // 00000000F058: D3B14006 1802AD56
	v_pk_fma_f32 v[4:5], v[4:5], s[78:79], v[8:9]              // 00000000F060: D3B04004 1C209D04
	v_pk_fma_f32 v[6:7], v[6:7], s[78:79], v[8:9]              // 00000000F068: D3B04006 1C209D06
	v_pk_mul_f32 v[4:5], v[4:5], v[84:85]                      // 00000000F070: D3B14004 1802A904
	v_pk_mul_f32 v[6:7], v[6:7], v[86:87]                      // 00000000F078: D3B14006 1802AD06
	v_pk_mul_f32 v[4:5], v[4:5], s[60:61]                      // 00000000F080: D3B14004 18007904
	v_pk_mul_f32 v[6:7], v[6:7], s[60:61]                      // 00000000F088: D3B14006 18007906
	v_exp_f32_e32 v4, v4                                       // 00000000F090: 7E084104
	v_exp_f32_e32 v5, v5                                       // 00000000F094: 7E0A4105
	v_exp_f32_e32 v6, v6                                       // 00000000F098: 7E0C4106
	v_exp_f32_e32 v7, v7                                       // 00000000F09C: 7E0E4107
	v_add_f32_e64 v4, v4, 1.0                                  // 00000000F0A0: D1010004 0001E504
	v_add_f32_e64 v5, v5, 1.0                                  // 00000000F0A8: D1010005 0001E505
	v_add_f32_e64 v6, v6, 1.0                                  // 00000000F0B0: D1010006 0001E506
	v_add_f32_e64 v7, v7, 1.0                                  // 00000000F0B8: D1010007 0001E507
	v_rcp_f32_e32 v4, v4                                       // 00000000F0C0: 7E084504
	v_rcp_f32_e32 v5, v5                                       // 00000000F0C4: 7E0A4505
	v_rcp_f32_e32 v6, v6                                       // 00000000F0C8: 7E0C4506
	v_rcp_f32_e32 v7, v7                                       // 00000000F0CC: 7E0E4507
	v_mul_f32_e32 v84, v84, v4                                 // 00000000F0D0: 0AA80954
	v_mul_f32_e32 v85, v85, v5                                 // 00000000F0D4: 0AAA0B55
	v_mul_f32_e32 v86, v86, v6                                 // 00000000F0D8: 0AAC0D56
	v_mul_f32_e32 v87, v87, v7                                 // 00000000F0DC: 0AAE0F57
	v_mul_f32_e32 v84, v84, v180                               // 00000000F0E0: 0AA96954
	v_mul_f32_e32 v85, v85, v181                               // 00000000F0E4: 0AAB6B55
	v_mul_f32_e32 v86, v86, v182                               // 00000000F0E8: 0AAD6D56
	v_mul_f32_e32 v87, v87, v183                               // 00000000F0EC: 0AAF6F57
	v_pk_mul_f32 v[4:5], v[88:89], v[88:89]                    // 00000000F0F0: D3B14004 1802B158
	v_pk_mul_f32 v[6:7], v[90:91], v[90:91]                    // 00000000F0F8: D3B14006 1802B55A
	v_pk_fma_f32 v[4:5], v[4:5], s[78:79], v[8:9]              // 00000000F100: D3B04004 1C209D04
	v_pk_fma_f32 v[6:7], v[6:7], s[78:79], v[8:9]              // 00000000F108: D3B04006 1C209D06
	v_pk_mul_f32 v[4:5], v[4:5], v[88:89]                      // 00000000F110: D3B14004 1802B104
	v_pk_mul_f32 v[6:7], v[6:7], v[90:91]                      // 00000000F118: D3B14006 1802B506
	v_pk_mul_f32 v[4:5], v[4:5], s[60:61]                      // 00000000F120: D3B14004 18007904
	v_pk_mul_f32 v[6:7], v[6:7], s[60:61]                      // 00000000F128: D3B14006 18007906
	v_exp_f32_e32 v4, v4                                       // 00000000F130: 7E084104
	v_exp_f32_e32 v5, v5                                       // 00000000F134: 7E0A4105
	v_exp_f32_e32 v6, v6                                       // 00000000F138: 7E0C4106
	v_exp_f32_e32 v7, v7                                       // 00000000F13C: 7E0E4107
	v_add_f32_e64 v4, v4, 1.0                                  // 00000000F140: D1010004 0001E504
	v_add_f32_e64 v5, v5, 1.0                                  // 00000000F148: D1010005 0001E505
	v_add_f32_e64 v6, v6, 1.0                                  // 00000000F150: D1010006 0001E506
	v_add_f32_e64 v7, v7, 1.0                                  // 00000000F158: D1010007 0001E507
	v_rcp_f32_e32 v4, v4                                       // 00000000F160: 7E084504
	v_rcp_f32_e32 v5, v5                                       // 00000000F164: 7E0A4505
	v_rcp_f32_e32 v6, v6                                       // 00000000F168: 7E0C4506
	v_rcp_f32_e32 v7, v7                                       // 00000000F16C: 7E0E4507
	v_mul_f32_e32 v88, v88, v4                                 // 00000000F170: 0AB00958
	v_mul_f32_e32 v89, v89, v5                                 // 00000000F174: 0AB20B59
	v_mul_f32_e32 v90, v90, v6                                 // 00000000F178: 0AB40D5A
	v_mul_f32_e32 v91, v91, v7                                 // 00000000F17C: 0AB60F5B
	v_mul_f32_e32 v88, v88, v184                               // 00000000F180: 0AB17158
	v_mul_f32_e32 v89, v89, v185                               // 00000000F184: 0AB37359
	v_mul_f32_e32 v90, v90, v186                               // 00000000F188: 0AB5755A
	v_mul_f32_e32 v91, v91, v187                               // 00000000F18C: 0AB7775B
	v_pk_mul_f32 v[4:5], v[92:93], v[92:93]                    // 00000000F190: D3B14004 1802B95C
	v_pk_mul_f32 v[6:7], v[94:95], v[94:95]                    // 00000000F198: D3B14006 1802BD5E
	v_pk_fma_f32 v[4:5], v[4:5], s[78:79], v[8:9]              // 00000000F1A0: D3B04004 1C209D04
	v_pk_fma_f32 v[6:7], v[6:7], s[78:79], v[8:9]              // 00000000F1A8: D3B04006 1C209D06
	v_pk_mul_f32 v[4:5], v[4:5], v[92:93]                      // 00000000F1B0: D3B14004 1802B904
	v_pk_mul_f32 v[6:7], v[6:7], v[94:95]                      // 00000000F1B8: D3B14006 1802BD06
	v_pk_mul_f32 v[4:5], v[4:5], s[60:61]                      // 00000000F1C0: D3B14004 18007904
	v_pk_mul_f32 v[6:7], v[6:7], s[60:61]                      // 00000000F1C8: D3B14006 18007906
	v_exp_f32_e32 v4, v4                                       // 00000000F1D0: 7E084104
	v_exp_f32_e32 v5, v5                                       // 00000000F1D4: 7E0A4105
	v_exp_f32_e32 v6, v6                                       // 00000000F1D8: 7E0C4106
	v_exp_f32_e32 v7, v7                                       // 00000000F1DC: 7E0E4107
	v_add_f32_e64 v4, v4, 1.0                                  // 00000000F1E0: D1010004 0001E504
	v_add_f32_e64 v5, v5, 1.0                                  // 00000000F1E8: D1010005 0001E505
	v_add_f32_e64 v6, v6, 1.0                                  // 00000000F1F0: D1010006 0001E506
	v_add_f32_e64 v7, v7, 1.0                                  // 00000000F1F8: D1010007 0001E507
	v_rcp_f32_e32 v4, v4                                       // 00000000F200: 7E084504
	v_rcp_f32_e32 v5, v5                                       // 00000000F204: 7E0A4505
	v_rcp_f32_e32 v6, v6                                       // 00000000F208: 7E0C4506
	v_rcp_f32_e32 v7, v7                                       // 00000000F20C: 7E0E4507
	v_mul_f32_e32 v92, v92, v4                                 // 00000000F210: 0AB8095C
	v_mul_f32_e32 v93, v93, v5                                 // 00000000F214: 0ABA0B5D
	v_mul_f32_e32 v94, v94, v6                                 // 00000000F218: 0ABC0D5E
	v_mul_f32_e32 v95, v95, v7                                 // 00000000F21C: 0ABE0F5F
	v_mul_f32_e32 v92, v92, v188                               // 00000000F220: 0AB9795C
	v_mul_f32_e32 v93, v93, v189                               // 00000000F224: 0ABB7B5D
	v_mul_f32_e32 v94, v94, v190                               // 00000000F228: 0ABD7D5E
	v_mul_f32_e32 v95, v95, v191                               // 00000000F22C: 0ABF7F5F
	v_pk_mul_f32 v[4:5], v[96:97], v[96:97]                    // 00000000F230: D3B14004 1802C160
	v_pk_mul_f32 v[6:7], v[98:99], v[98:99]                    // 00000000F238: D3B14006 1802C562
	v_pk_fma_f32 v[4:5], v[4:5], s[78:79], v[8:9]              // 00000000F240: D3B04004 1C209D04
	v_pk_fma_f32 v[6:7], v[6:7], s[78:79], v[8:9]              // 00000000F248: D3B04006 1C209D06
	v_pk_mul_f32 v[4:5], v[4:5], v[96:97]                      // 00000000F250: D3B14004 1802C104
	v_pk_mul_f32 v[6:7], v[6:7], v[98:99]                      // 00000000F258: D3B14006 1802C506
	v_pk_mul_f32 v[4:5], v[4:5], s[60:61]                      // 00000000F260: D3B14004 18007904
	v_pk_mul_f32 v[6:7], v[6:7], s[60:61]                      // 00000000F268: D3B14006 18007906
	v_exp_f32_e32 v4, v4                                       // 00000000F270: 7E084104
	v_exp_f32_e32 v5, v5                                       // 00000000F274: 7E0A4105
	v_exp_f32_e32 v6, v6                                       // 00000000F278: 7E0C4106
	v_exp_f32_e32 v7, v7                                       // 00000000F27C: 7E0E4107
	v_add_f32_e64 v4, v4, 1.0                                  // 00000000F280: D1010004 0001E504
	v_add_f32_e64 v5, v5, 1.0                                  // 00000000F288: D1010005 0001E505
	v_add_f32_e64 v6, v6, 1.0                                  // 00000000F290: D1010006 0001E506
	v_add_f32_e64 v7, v7, 1.0                                  // 00000000F298: D1010007 0001E507
	v_rcp_f32_e32 v4, v4                                       // 00000000F2A0: 7E084504
	v_rcp_f32_e32 v5, v5                                       // 00000000F2A4: 7E0A4505
	v_rcp_f32_e32 v6, v6                                       // 00000000F2A8: 7E0C4506
	v_rcp_f32_e32 v7, v7                                       // 00000000F2AC: 7E0E4507
	v_mul_f32_e32 v96, v96, v4                                 // 00000000F2B0: 0AC00960
	v_mul_f32_e32 v97, v97, v5                                 // 00000000F2B4: 0AC20B61
	v_mul_f32_e32 v98, v98, v6                                 // 00000000F2B8: 0AC40D62
	v_mul_f32_e32 v99, v99, v7                                 // 00000000F2BC: 0AC60F63
	v_mul_f32_e32 v96, v96, v192                               // 00000000F2C0: 0AC18160
	v_mul_f32_e32 v97, v97, v193                               // 00000000F2C4: 0AC38361
	v_mul_f32_e32 v98, v98, v194                               // 00000000F2C8: 0AC58562
	v_mul_f32_e32 v99, v99, v195                               // 00000000F2CC: 0AC78763
	v_pk_mul_f32 v[4:5], v[100:101], v[100:101]                // 00000000F2D0: D3B14004 1802C964
	v_pk_mul_f32 v[6:7], v[102:103], v[102:103]                // 00000000F2D8: D3B14006 1802CD66
	v_pk_fma_f32 v[4:5], v[4:5], s[78:79], v[8:9]              // 00000000F2E0: D3B04004 1C209D04
	v_pk_fma_f32 v[6:7], v[6:7], s[78:79], v[8:9]              // 00000000F2E8: D3B04006 1C209D06
	v_pk_mul_f32 v[4:5], v[4:5], v[100:101]                    // 00000000F2F0: D3B14004 1802C904
	v_pk_mul_f32 v[6:7], v[6:7], v[102:103]                    // 00000000F2F8: D3B14006 1802CD06
	v_pk_mul_f32 v[4:5], v[4:5], s[60:61]                      // 00000000F300: D3B14004 18007904
	v_pk_mul_f32 v[6:7], v[6:7], s[60:61]                      // 00000000F308: D3B14006 18007906
	v_exp_f32_e32 v4, v4                                       // 00000000F310: 7E084104
	v_exp_f32_e32 v5, v5                                       // 00000000F314: 7E0A4105
	v_exp_f32_e32 v6, v6                                       // 00000000F318: 7E0C4106
	v_exp_f32_e32 v7, v7                                       // 00000000F31C: 7E0E4107
	v_add_f32_e64 v4, v4, 1.0                                  // 00000000F320: D1010004 0001E504
	v_add_f32_e64 v5, v5, 1.0                                  // 00000000F328: D1010005 0001E505
	v_add_f32_e64 v6, v6, 1.0                                  // 00000000F330: D1010006 0001E506
	v_add_f32_e64 v7, v7, 1.0                                  // 00000000F338: D1010007 0001E507
	v_rcp_f32_e32 v4, v4                                       // 00000000F340: 7E084504
	v_rcp_f32_e32 v5, v5                                       // 00000000F344: 7E0A4505
	v_rcp_f32_e32 v6, v6                                       // 00000000F348: 7E0C4506
	v_rcp_f32_e32 v7, v7                                       // 00000000F34C: 7E0E4507
	v_mul_f32_e32 v100, v100, v4                               // 00000000F350: 0AC80964
	v_mul_f32_e32 v101, v101, v5                               // 00000000F354: 0ACA0B65
	v_mul_f32_e32 v102, v102, v6                               // 00000000F358: 0ACC0D66
	v_mul_f32_e32 v103, v103, v7                               // 00000000F35C: 0ACE0F67
	v_mul_f32_e32 v100, v100, v196                             // 00000000F360: 0AC98964
	v_mul_f32_e32 v101, v101, v197                             // 00000000F364: 0ACB8B65
	v_mul_f32_e32 v102, v102, v198                             // 00000000F368: 0ACD8D66
	v_mul_f32_e32 v103, v103, v199                             // 00000000F36C: 0ACF8F67
	v_pk_mul_f32 v[4:5], v[104:105], v[104:105]                // 00000000F370: D3B14004 1802D168
	v_pk_mul_f32 v[6:7], v[106:107], v[106:107]                // 00000000F378: D3B14006 1802D56A
	v_pk_fma_f32 v[4:5], v[4:5], s[78:79], v[8:9]              // 00000000F380: D3B04004 1C209D04
	v_pk_fma_f32 v[6:7], v[6:7], s[78:79], v[8:9]              // 00000000F388: D3B04006 1C209D06
	v_pk_mul_f32 v[4:5], v[4:5], v[104:105]                    // 00000000F390: D3B14004 1802D104
	v_pk_mul_f32 v[6:7], v[6:7], v[106:107]                    // 00000000F398: D3B14006 1802D506
	v_pk_mul_f32 v[4:5], v[4:5], s[60:61]                      // 00000000F3A0: D3B14004 18007904
	v_pk_mul_f32 v[6:7], v[6:7], s[60:61]                      // 00000000F3A8: D3B14006 18007906
	v_exp_f32_e32 v4, v4                                       // 00000000F3B0: 7E084104
	v_exp_f32_e32 v5, v5                                       // 00000000F3B4: 7E0A4105
	v_exp_f32_e32 v6, v6                                       // 00000000F3B8: 7E0C4106
	v_exp_f32_e32 v7, v7                                       // 00000000F3BC: 7E0E4107
	v_add_f32_e64 v4, v4, 1.0                                  // 00000000F3C0: D1010004 0001E504
	v_add_f32_e64 v5, v5, 1.0                                  // 00000000F3C8: D1010005 0001E505
	v_add_f32_e64 v6, v6, 1.0                                  // 00000000F3D0: D1010006 0001E506
	v_add_f32_e64 v7, v7, 1.0                                  // 00000000F3D8: D1010007 0001E507
	v_rcp_f32_e32 v4, v4                                       // 00000000F3E0: 7E084504
	v_rcp_f32_e32 v5, v5                                       // 00000000F3E4: 7E0A4505
	v_rcp_f32_e32 v6, v6                                       // 00000000F3E8: 7E0C4506
	v_rcp_f32_e32 v7, v7                                       // 00000000F3EC: 7E0E4507
	v_mul_f32_e32 v104, v104, v4                               // 00000000F3F0: 0AD00968
	v_mul_f32_e32 v105, v105, v5                               // 00000000F3F4: 0AD20B69
	v_mul_f32_e32 v106, v106, v6                               // 00000000F3F8: 0AD40D6A
	v_mul_f32_e32 v107, v107, v7                               // 00000000F3FC: 0AD60F6B
	v_mul_f32_e32 v104, v104, v200                             // 00000000F400: 0AD19168
	v_mul_f32_e32 v105, v105, v201                             // 00000000F404: 0AD39369
	v_mul_f32_e32 v106, v106, v202                             // 00000000F408: 0AD5956A
	v_mul_f32_e32 v107, v107, v203                             // 00000000F40C: 0AD7976B
	v_pk_mul_f32 v[4:5], v[108:109], v[108:109]                // 00000000F410: D3B14004 1802D96C
	v_pk_mul_f32 v[6:7], v[110:111], v[110:111]                // 00000000F418: D3B14006 1802DD6E
	v_pk_fma_f32 v[4:5], v[4:5], s[78:79], v[8:9]              // 00000000F420: D3B04004 1C209D04
	v_pk_fma_f32 v[6:7], v[6:7], s[78:79], v[8:9]              // 00000000F428: D3B04006 1C209D06
	v_pk_mul_f32 v[4:5], v[4:5], v[108:109]                    // 00000000F430: D3B14004 1802D904
	v_pk_mul_f32 v[6:7], v[6:7], v[110:111]                    // 00000000F438: D3B14006 1802DD06
	v_pk_mul_f32 v[4:5], v[4:5], s[60:61]                      // 00000000F440: D3B14004 18007904
	v_pk_mul_f32 v[6:7], v[6:7], s[60:61]                      // 00000000F448: D3B14006 18007906
	v_exp_f32_e32 v4, v4                                       // 00000000F450: 7E084104
	v_exp_f32_e32 v5, v5                                       // 00000000F454: 7E0A4105
	v_exp_f32_e32 v6, v6                                       // 00000000F458: 7E0C4106
	v_exp_f32_e32 v7, v7                                       // 00000000F45C: 7E0E4107
	v_add_f32_e64 v4, v4, 1.0                                  // 00000000F460: D1010004 0001E504
	v_add_f32_e64 v5, v5, 1.0                                  // 00000000F468: D1010005 0001E505
	v_add_f32_e64 v6, v6, 1.0                                  // 00000000F470: D1010006 0001E506
	v_add_f32_e64 v7, v7, 1.0                                  // 00000000F478: D1010007 0001E507
	v_rcp_f32_e32 v4, v4                                       // 00000000F480: 7E084504
	v_rcp_f32_e32 v5, v5                                       // 00000000F484: 7E0A4505
	v_rcp_f32_e32 v6, v6                                       // 00000000F488: 7E0C4506
	v_rcp_f32_e32 v7, v7                                       // 00000000F48C: 7E0E4507
	v_mul_f32_e32 v108, v108, v4                               // 00000000F490: 0AD8096C
	v_mul_f32_e32 v109, v109, v5                               // 00000000F494: 0ADA0B6D
	v_mul_f32_e32 v110, v110, v6                               // 00000000F498: 0ADC0D6E
	v_mul_f32_e32 v111, v111, v7                               // 00000000F49C: 0ADE0F6F
	v_mul_f32_e32 v108, v108, v204                             // 00000000F4A0: 0AD9996C
	v_mul_f32_e32 v109, v109, v205                             // 00000000F4A4: 0ADB9B6D
	v_mul_f32_e32 v110, v110, v206                             // 00000000F4A8: 0ADD9D6E
	v_mul_f32_e32 v111, v111, v207                             // 00000000F4AC: 0ADF9F6F
	v_pk_mul_f32 v[4:5], v[112:113], v[112:113]                // 00000000F4B0: D3B14004 1802E170
	v_pk_mul_f32 v[6:7], v[114:115], v[114:115]                // 00000000F4B8: D3B14006 1802E572
	v_pk_fma_f32 v[4:5], v[4:5], s[78:79], v[8:9]              // 00000000F4C0: D3B04004 1C209D04
	v_pk_fma_f32 v[6:7], v[6:7], s[78:79], v[8:9]              // 00000000F4C8: D3B04006 1C209D06
	v_pk_mul_f32 v[4:5], v[4:5], v[112:113]                    // 00000000F4D0: D3B14004 1802E104
	v_pk_mul_f32 v[6:7], v[6:7], v[114:115]                    // 00000000F4D8: D3B14006 1802E506
	v_pk_mul_f32 v[4:5], v[4:5], s[60:61]                      // 00000000F4E0: D3B14004 18007904
	v_pk_mul_f32 v[6:7], v[6:7], s[60:61]                      // 00000000F4E8: D3B14006 18007906
	v_exp_f32_e32 v4, v4                                       // 00000000F4F0: 7E084104
	v_exp_f32_e32 v5, v5                                       // 00000000F4F4: 7E0A4105
	v_exp_f32_e32 v6, v6                                       // 00000000F4F8: 7E0C4106
	v_exp_f32_e32 v7, v7                                       // 00000000F4FC: 7E0E4107
	v_add_f32_e64 v4, v4, 1.0                                  // 00000000F500: D1010004 0001E504
	v_add_f32_e64 v5, v5, 1.0                                  // 00000000F508: D1010005 0001E505
	v_add_f32_e64 v6, v6, 1.0                                  // 00000000F510: D1010006 0001E506
	v_add_f32_e64 v7, v7, 1.0                                  // 00000000F518: D1010007 0001E507
	v_rcp_f32_e32 v4, v4                                       // 00000000F520: 7E084504
	v_rcp_f32_e32 v5, v5                                       // 00000000F524: 7E0A4505
	v_rcp_f32_e32 v6, v6                                       // 00000000F528: 7E0C4506
	v_rcp_f32_e32 v7, v7                                       // 00000000F52C: 7E0E4507
	v_mul_f32_e32 v112, v112, v4                               // 00000000F530: 0AE00970
	v_mul_f32_e32 v113, v113, v5                               // 00000000F534: 0AE20B71
	v_mul_f32_e32 v114, v114, v6                               // 00000000F538: 0AE40D72
	v_mul_f32_e32 v115, v115, v7                               // 00000000F53C: 0AE60F73
	v_mul_f32_e32 v112, v112, v208                             // 00000000F540: 0AE1A170
	v_mul_f32_e32 v113, v113, v209                             // 00000000F544: 0AE3A371
	v_mul_f32_e32 v114, v114, v210                             // 00000000F548: 0AE5A572
	v_mul_f32_e32 v115, v115, v211                             // 00000000F54C: 0AE7A773
	v_pk_mul_f32 v[4:5], v[116:117], v[116:117]                // 00000000F550: D3B14004 1802E974
	v_pk_mul_f32 v[6:7], v[118:119], v[118:119]                // 00000000F558: D3B14006 1802ED76
	v_pk_fma_f32 v[4:5], v[4:5], s[78:79], v[8:9]              // 00000000F560: D3B04004 1C209D04
	v_pk_fma_f32 v[6:7], v[6:7], s[78:79], v[8:9]              // 00000000F568: D3B04006 1C209D06
	v_pk_mul_f32 v[4:5], v[4:5], v[116:117]                    // 00000000F570: D3B14004 1802E904
	v_pk_mul_f32 v[6:7], v[6:7], v[118:119]                    // 00000000F578: D3B14006 1802ED06
	v_pk_mul_f32 v[4:5], v[4:5], s[60:61]                      // 00000000F580: D3B14004 18007904
	v_pk_mul_f32 v[6:7], v[6:7], s[60:61]                      // 00000000F588: D3B14006 18007906
	v_exp_f32_e32 v4, v4                                       // 00000000F590: 7E084104
	v_exp_f32_e32 v5, v5                                       // 00000000F594: 7E0A4105
	v_exp_f32_e32 v6, v6                                       // 00000000F598: 7E0C4106
	v_exp_f32_e32 v7, v7                                       // 00000000F59C: 7E0E4107
	v_add_f32_e64 v4, v4, 1.0                                  // 00000000F5A0: D1010004 0001E504
	v_add_f32_e64 v5, v5, 1.0                                  // 00000000F5A8: D1010005 0001E505
	v_add_f32_e64 v6, v6, 1.0                                  // 00000000F5B0: D1010006 0001E506
	v_add_f32_e64 v7, v7, 1.0                                  // 00000000F5B8: D1010007 0001E507
	v_rcp_f32_e32 v4, v4                                       // 00000000F5C0: 7E084504
	v_rcp_f32_e32 v5, v5                                       // 00000000F5C4: 7E0A4505
	v_rcp_f32_e32 v6, v6                                       // 00000000F5C8: 7E0C4506
	v_rcp_f32_e32 v7, v7                                       // 00000000F5CC: 7E0E4507
	v_mul_f32_e32 v116, v116, v4                               // 00000000F5D0: 0AE80974
	v_mul_f32_e32 v117, v117, v5                               // 00000000F5D4: 0AEA0B75
	v_mul_f32_e32 v118, v118, v6                               // 00000000F5D8: 0AEC0D76
	v_mul_f32_e32 v119, v119, v7                               // 00000000F5DC: 0AEE0F77
	v_mul_f32_e32 v116, v116, v212                             // 00000000F5E0: 0AE9A974
	v_mul_f32_e32 v117, v117, v213                             // 00000000F5E4: 0AEBAB75
	v_mul_f32_e32 v118, v118, v214                             // 00000000F5E8: 0AEDAD76
	v_mul_f32_e32 v119, v119, v215                             // 00000000F5EC: 0AEFAF77
	v_pk_mul_f32 v[4:5], v[120:121], v[120:121]                // 00000000F5F0: D3B14004 1802F178
	v_pk_mul_f32 v[6:7], v[122:123], v[122:123]                // 00000000F5F8: D3B14006 1802F57A
	v_pk_fma_f32 v[4:5], v[4:5], s[78:79], v[8:9]              // 00000000F600: D3B04004 1C209D04
	v_pk_fma_f32 v[6:7], v[6:7], s[78:79], v[8:9]              // 00000000F608: D3B04006 1C209D06
	v_pk_mul_f32 v[4:5], v[4:5], v[120:121]                    // 00000000F610: D3B14004 1802F104
	v_pk_mul_f32 v[6:7], v[6:7], v[122:123]                    // 00000000F618: D3B14006 1802F506
	v_pk_mul_f32 v[4:5], v[4:5], s[60:61]                      // 00000000F620: D3B14004 18007904
	v_pk_mul_f32 v[6:7], v[6:7], s[60:61]                      // 00000000F628: D3B14006 18007906
	v_exp_f32_e32 v4, v4                                       // 00000000F630: 7E084104
	v_exp_f32_e32 v5, v5                                       // 00000000F634: 7E0A4105
	v_exp_f32_e32 v6, v6                                       // 00000000F638: 7E0C4106
	v_exp_f32_e32 v7, v7                                       // 00000000F63C: 7E0E4107
	v_add_f32_e64 v4, v4, 1.0                                  // 00000000F640: D1010004 0001E504
	v_add_f32_e64 v5, v5, 1.0                                  // 00000000F648: D1010005 0001E505
	v_add_f32_e64 v6, v6, 1.0                                  // 00000000F650: D1010006 0001E506
	v_add_f32_e64 v7, v7, 1.0                                  // 00000000F658: D1010007 0001E507
	v_rcp_f32_e32 v4, v4                                       // 00000000F660: 7E084504
	v_rcp_f32_e32 v5, v5                                       // 00000000F664: 7E0A4505
	v_rcp_f32_e32 v6, v6                                       // 00000000F668: 7E0C4506
	v_rcp_f32_e32 v7, v7                                       // 00000000F66C: 7E0E4507
	v_mul_f32_e32 v120, v120, v4                               // 00000000F670: 0AF00978
	v_mul_f32_e32 v121, v121, v5                               // 00000000F674: 0AF20B79
	v_mul_f32_e32 v122, v122, v6                               // 00000000F678: 0AF40D7A
	v_mul_f32_e32 v123, v123, v7                               // 00000000F67C: 0AF60F7B
	v_mul_f32_e32 v120, v120, v216                             // 00000000F680: 0AF1B178
	v_mul_f32_e32 v121, v121, v217                             // 00000000F684: 0AF3B379
	v_mul_f32_e32 v122, v122, v218                             // 00000000F688: 0AF5B57A
	v_mul_f32_e32 v123, v123, v219                             // 00000000F68C: 0AF7B77B
	v_pk_mul_f32 v[4:5], v[124:125], v[124:125]                // 00000000F690: D3B14004 1802F97C
	v_pk_mul_f32 v[6:7], v[126:127], v[126:127]                // 00000000F698: D3B14006 1802FD7E
	v_pk_fma_f32 v[4:5], v[4:5], s[78:79], v[8:9]              // 00000000F6A0: D3B04004 1C209D04
	v_pk_fma_f32 v[6:7], v[6:7], s[78:79], v[8:9]              // 00000000F6A8: D3B04006 1C209D06
	v_pk_mul_f32 v[4:5], v[4:5], v[124:125]                    // 00000000F6B0: D3B14004 1802F904
	v_pk_mul_f32 v[6:7], v[6:7], v[126:127]                    // 00000000F6B8: D3B14006 1802FD06
	v_pk_mul_f32 v[4:5], v[4:5], s[60:61]                      // 00000000F6C0: D3B14004 18007904
	v_pk_mul_f32 v[6:7], v[6:7], s[60:61]                      // 00000000F6C8: D3B14006 18007906
	v_exp_f32_e32 v4, v4                                       // 00000000F6D0: 7E084104
	v_exp_f32_e32 v5, v5                                       // 00000000F6D4: 7E0A4105
	v_exp_f32_e32 v6, v6                                       // 00000000F6D8: 7E0C4106
	v_exp_f32_e32 v7, v7                                       // 00000000F6DC: 7E0E4107
	v_add_f32_e64 v4, v4, 1.0                                  // 00000000F6E0: D1010004 0001E504
	v_add_f32_e64 v5, v5, 1.0                                  // 00000000F6E8: D1010005 0001E505
	v_add_f32_e64 v6, v6, 1.0                                  // 00000000F6F0: D1010006 0001E506
	v_add_f32_e64 v7, v7, 1.0                                  // 00000000F6F8: D1010007 0001E507
	v_rcp_f32_e32 v4, v4                                       // 00000000F700: 7E084504
	v_rcp_f32_e32 v5, v5                                       // 00000000F704: 7E0A4505
	v_rcp_f32_e32 v6, v6                                       // 00000000F708: 7E0C4506
	v_rcp_f32_e32 v7, v7                                       // 00000000F70C: 7E0E4507
	v_mul_f32_e32 v124, v124, v4                               // 00000000F710: 0AF8097C
	v_mul_f32_e32 v125, v125, v5                               // 00000000F714: 0AFA0B7D
	v_mul_f32_e32 v126, v126, v6                               // 00000000F718: 0AFC0D7E
	v_mul_f32_e32 v127, v127, v7                               // 00000000F71C: 0AFE0F7F
	v_mul_f32_e32 v124, v124, v220                             // 00000000F720: 0AF9B97C
	v_mul_f32_e32 v125, v125, v221                             // 00000000F724: 0AFBBB7D
	v_mul_f32_e32 v126, v126, v222                             // 00000000F728: 0AFDBD7E
	v_mul_f32_e32 v127, v127, v223                             // 00000000F72C: 0AFFBF7F
	v_pk_mul_f32 v[4:5], v[128:129], v[128:129]                // 00000000F730: D3B14004 18030180
	v_pk_mul_f32 v[6:7], v[130:131], v[130:131]                // 00000000F738: D3B14006 18030582
	v_pk_fma_f32 v[4:5], v[4:5], s[78:79], v[8:9]              // 00000000F740: D3B04004 1C209D04
	v_pk_fma_f32 v[6:7], v[6:7], s[78:79], v[8:9]              // 00000000F748: D3B04006 1C209D06
	v_pk_mul_f32 v[4:5], v[4:5], v[128:129]                    // 00000000F750: D3B14004 18030104
	v_pk_mul_f32 v[6:7], v[6:7], v[130:131]                    // 00000000F758: D3B14006 18030506
	v_pk_mul_f32 v[4:5], v[4:5], s[60:61]                      // 00000000F760: D3B14004 18007904
	v_pk_mul_f32 v[6:7], v[6:7], s[60:61]                      // 00000000F768: D3B14006 18007906
	v_exp_f32_e32 v4, v4                                       // 00000000F770: 7E084104
	v_exp_f32_e32 v5, v5                                       // 00000000F774: 7E0A4105
	v_exp_f32_e32 v6, v6                                       // 00000000F778: 7E0C4106
	v_exp_f32_e32 v7, v7                                       // 00000000F77C: 7E0E4107
	v_add_f32_e64 v4, v4, 1.0                                  // 00000000F780: D1010004 0001E504
	v_add_f32_e64 v5, v5, 1.0                                  // 00000000F788: D1010005 0001E505
	v_add_f32_e64 v6, v6, 1.0                                  // 00000000F790: D1010006 0001E506
	v_add_f32_e64 v7, v7, 1.0                                  // 00000000F798: D1010007 0001E507
	v_rcp_f32_e32 v4, v4                                       // 00000000F7A0: 7E084504
	v_rcp_f32_e32 v5, v5                                       // 00000000F7A4: 7E0A4505
	v_rcp_f32_e32 v6, v6                                       // 00000000F7A8: 7E0C4506
	v_rcp_f32_e32 v7, v7                                       // 00000000F7AC: 7E0E4507
	v_mul_f32_e32 v128, v128, v4                               // 00000000F7B0: 0B000980
	v_mul_f32_e32 v129, v129, v5                               // 00000000F7B4: 0B020B81
	v_mul_f32_e32 v130, v130, v6                               // 00000000F7B8: 0B040D82
	v_mul_f32_e32 v131, v131, v7                               // 00000000F7BC: 0B060F83
	v_mul_f32_e32 v128, v128, v224                             // 00000000F7C0: 0B01C180
	v_mul_f32_e32 v129, v129, v225                             // 00000000F7C4: 0B03C381
	v_mul_f32_e32 v130, v130, v226                             // 00000000F7C8: 0B05C582
	v_mul_f32_e32 v131, v131, v227                             // 00000000F7CC: 0B07C783
	v_pk_mul_f32 v[4:5], v[132:133], v[132:133]                // 00000000F7D0: D3B14004 18030984
	v_pk_mul_f32 v[6:7], v[134:135], v[134:135]                // 00000000F7D8: D3B14006 18030D86
	v_pk_fma_f32 v[4:5], v[4:5], s[78:79], v[8:9]              // 00000000F7E0: D3B04004 1C209D04
	v_pk_fma_f32 v[6:7], v[6:7], s[78:79], v[8:9]              // 00000000F7E8: D3B04006 1C209D06
	v_pk_mul_f32 v[4:5], v[4:5], v[132:133]                    // 00000000F7F0: D3B14004 18030904
	v_pk_mul_f32 v[6:7], v[6:7], v[134:135]                    // 00000000F7F8: D3B14006 18030D06
	v_pk_mul_f32 v[4:5], v[4:5], s[60:61]                      // 00000000F800: D3B14004 18007904
	v_pk_mul_f32 v[6:7], v[6:7], s[60:61]                      // 00000000F808: D3B14006 18007906
	v_exp_f32_e32 v4, v4                                       // 00000000F810: 7E084104
	v_exp_f32_e32 v5, v5                                       // 00000000F814: 7E0A4105
	v_exp_f32_e32 v6, v6                                       // 00000000F818: 7E0C4106
	v_exp_f32_e32 v7, v7                                       // 00000000F81C: 7E0E4107
	v_add_f32_e64 v4, v4, 1.0                                  // 00000000F820: D1010004 0001E504
	v_add_f32_e64 v5, v5, 1.0                                  // 00000000F828: D1010005 0001E505
	v_add_f32_e64 v6, v6, 1.0                                  // 00000000F830: D1010006 0001E506
	v_add_f32_e64 v7, v7, 1.0                                  // 00000000F838: D1010007 0001E507
	v_rcp_f32_e32 v4, v4                                       // 00000000F840: 7E084504
	v_rcp_f32_e32 v5, v5                                       // 00000000F844: 7E0A4505
	v_rcp_f32_e32 v6, v6                                       // 00000000F848: 7E0C4506
	v_rcp_f32_e32 v7, v7                                       // 00000000F84C: 7E0E4507
	v_mul_f32_e32 v132, v132, v4                               // 00000000F850: 0B080984
	v_mul_f32_e32 v133, v133, v5                               // 00000000F854: 0B0A0B85
	v_mul_f32_e32 v134, v134, v6                               // 00000000F858: 0B0C0D86
	v_mul_f32_e32 v135, v135, v7                               // 00000000F85C: 0B0E0F87
	v_mul_f32_e32 v132, v132, v228                             // 00000000F860: 0B09C984
	v_mul_f32_e32 v133, v133, v229                             // 00000000F864: 0B0BCB85
	v_mul_f32_e32 v134, v134, v230                             // 00000000F868: 0B0DCD86
	v_mul_f32_e32 v135, v135, v231                             // 00000000F86C: 0B0FCF87
	v_pk_mul_f32 v[4:5], v[136:137], v[136:137]                // 00000000F870: D3B14004 18031188
	v_pk_mul_f32 v[6:7], v[138:139], v[138:139]                // 00000000F878: D3B14006 1803158A
	v_pk_fma_f32 v[4:5], v[4:5], s[78:79], v[8:9]              // 00000000F880: D3B04004 1C209D04
	v_pk_fma_f32 v[6:7], v[6:7], s[78:79], v[8:9]              // 00000000F888: D3B04006 1C209D06
	v_pk_mul_f32 v[4:5], v[4:5], v[136:137]                    // 00000000F890: D3B14004 18031104
	v_pk_mul_f32 v[6:7], v[6:7], v[138:139]                    // 00000000F898: D3B14006 18031506
	v_pk_mul_f32 v[4:5], v[4:5], s[60:61]                      // 00000000F8A0: D3B14004 18007904
	v_pk_mul_f32 v[6:7], v[6:7], s[60:61]                      // 00000000F8A8: D3B14006 18007906
	v_exp_f32_e32 v4, v4                                       // 00000000F8B0: 7E084104
	v_exp_f32_e32 v5, v5                                       // 00000000F8B4: 7E0A4105
	v_exp_f32_e32 v6, v6                                       // 00000000F8B8: 7E0C4106
	v_exp_f32_e32 v7, v7                                       // 00000000F8BC: 7E0E4107
	v_add_f32_e64 v4, v4, 1.0                                  // 00000000F8C0: D1010004 0001E504
	v_add_f32_e64 v5, v5, 1.0                                  // 00000000F8C8: D1010005 0001E505
	v_add_f32_e64 v6, v6, 1.0                                  // 00000000F8D0: D1010006 0001E506
	v_add_f32_e64 v7, v7, 1.0                                  // 00000000F8D8: D1010007 0001E507
	v_rcp_f32_e32 v4, v4                                       // 00000000F8E0: 7E084504
	v_rcp_f32_e32 v5, v5                                       // 00000000F8E4: 7E0A4505
	v_rcp_f32_e32 v6, v6                                       // 00000000F8E8: 7E0C4506
	v_rcp_f32_e32 v7, v7                                       // 00000000F8EC: 7E0E4507
	v_mul_f32_e32 v136, v136, v4                               // 00000000F8F0: 0B100988
	v_mul_f32_e32 v137, v137, v5                               // 00000000F8F4: 0B120B89
	v_mul_f32_e32 v138, v138, v6                               // 00000000F8F8: 0B140D8A
	v_mul_f32_e32 v139, v139, v7                               // 00000000F8FC: 0B160F8B
	v_mul_f32_e32 v136, v136, v232                             // 00000000F900: 0B11D188
	v_mul_f32_e32 v137, v137, v233                             // 00000000F904: 0B13D389
	v_mul_f32_e32 v138, v138, v234                             // 00000000F908: 0B15D58A
	v_mul_f32_e32 v139, v139, v235                             // 00000000F90C: 0B17D78B
	v_pk_mul_f32 v[4:5], v[140:141], v[140:141]                // 00000000F910: D3B14004 1803198C
	v_pk_mul_f32 v[6:7], v[142:143], v[142:143]                // 00000000F918: D3B14006 18031D8E
	v_pk_fma_f32 v[4:5], v[4:5], s[78:79], v[8:9]              // 00000000F920: D3B04004 1C209D04
	v_pk_fma_f32 v[6:7], v[6:7], s[78:79], v[8:9]              // 00000000F928: D3B04006 1C209D06
	v_pk_mul_f32 v[4:5], v[4:5], v[140:141]                    // 00000000F930: D3B14004 18031904
	v_pk_mul_f32 v[6:7], v[6:7], v[142:143]                    // 00000000F938: D3B14006 18031D06
	v_pk_mul_f32 v[4:5], v[4:5], s[60:61]                      // 00000000F940: D3B14004 18007904
	v_pk_mul_f32 v[6:7], v[6:7], s[60:61]                      // 00000000F948: D3B14006 18007906
	v_exp_f32_e32 v4, v4                                       // 00000000F950: 7E084104
	v_exp_f32_e32 v5, v5                                       // 00000000F954: 7E0A4105
	v_exp_f32_e32 v6, v6                                       // 00000000F958: 7E0C4106
	v_exp_f32_e32 v7, v7                                       // 00000000F95C: 7E0E4107
	v_add_f32_e64 v4, v4, 1.0                                  // 00000000F960: D1010004 0001E504
	v_add_f32_e64 v5, v5, 1.0                                  // 00000000F968: D1010005 0001E505
	v_add_f32_e64 v6, v6, 1.0                                  // 00000000F970: D1010006 0001E506
	v_add_f32_e64 v7, v7, 1.0                                  // 00000000F978: D1010007 0001E507
	v_rcp_f32_e32 v4, v4                                       // 00000000F980: 7E084504
	v_rcp_f32_e32 v5, v5                                       // 00000000F984: 7E0A4505
	v_rcp_f32_e32 v6, v6                                       // 00000000F988: 7E0C4506
	v_rcp_f32_e32 v7, v7                                       // 00000000F98C: 7E0E4507
	v_mul_f32_e32 v140, v140, v4                               // 00000000F990: 0B18098C
	v_mul_f32_e32 v141, v141, v5                               // 00000000F994: 0B1A0B8D
	v_mul_f32_e32 v142, v142, v6                               // 00000000F998: 0B1C0D8E
	v_mul_f32_e32 v143, v143, v7                               // 00000000F99C: 0B1E0F8F
	v_mul_f32_e32 v140, v140, v236                             // 00000000F9A0: 0B19D98C
	v_mul_f32_e32 v141, v141, v237                             // 00000000F9A4: 0B1BDB8D
	v_mul_f32_e32 v142, v142, v238                             // 00000000F9A8: 0B1DDD8E
	v_mul_f32_e32 v143, v143, v239                             // 00000000F9AC: 0B1FDF8F
	v_pk_mul_f32 v[4:5], v[144:145], v[144:145]                // 00000000F9B0: D3B14004 18032190
	v_pk_mul_f32 v[6:7], v[146:147], v[146:147]                // 00000000F9B8: D3B14006 18032592
	v_pk_fma_f32 v[4:5], v[4:5], s[78:79], v[8:9]              // 00000000F9C0: D3B04004 1C209D04
	v_pk_fma_f32 v[6:7], v[6:7], s[78:79], v[8:9]              // 00000000F9C8: D3B04006 1C209D06
	v_pk_mul_f32 v[4:5], v[4:5], v[144:145]                    // 00000000F9D0: D3B14004 18032104
	v_pk_mul_f32 v[6:7], v[6:7], v[146:147]                    // 00000000F9D8: D3B14006 18032506
	v_pk_mul_f32 v[4:5], v[4:5], s[60:61]                      // 00000000F9E0: D3B14004 18007904
	v_pk_mul_f32 v[6:7], v[6:7], s[60:61]                      // 00000000F9E8: D3B14006 18007906
	v_exp_f32_e32 v4, v4                                       // 00000000F9F0: 7E084104
	v_exp_f32_e32 v5, v5                                       // 00000000F9F4: 7E0A4105
	v_exp_f32_e32 v6, v6                                       // 00000000F9F8: 7E0C4106
	v_exp_f32_e32 v7, v7                                       // 00000000F9FC: 7E0E4107
	v_add_f32_e64 v4, v4, 1.0                                  // 00000000FA00: D1010004 0001E504
	v_add_f32_e64 v5, v5, 1.0                                  // 00000000FA08: D1010005 0001E505
	v_add_f32_e64 v6, v6, 1.0                                  // 00000000FA10: D1010006 0001E506
	v_add_f32_e64 v7, v7, 1.0                                  // 00000000FA18: D1010007 0001E507
	v_rcp_f32_e32 v4, v4                                       // 00000000FA20: 7E084504
	v_rcp_f32_e32 v5, v5                                       // 00000000FA24: 7E0A4505
	v_rcp_f32_e32 v6, v6                                       // 00000000FA28: 7E0C4506
	v_rcp_f32_e32 v7, v7                                       // 00000000FA2C: 7E0E4507
	v_mul_f32_e32 v144, v144, v4                               // 00000000FA30: 0B200990
	v_mul_f32_e32 v145, v145, v5                               // 00000000FA34: 0B220B91
	v_mul_f32_e32 v146, v146, v6                               // 00000000FA38: 0B240D92
	v_mul_f32_e32 v147, v147, v7                               // 00000000FA3C: 0B260F93
	v_mul_f32_e32 v144, v144, v240                             // 00000000FA40: 0B21E190
	v_mul_f32_e32 v145, v145, v241                             // 00000000FA44: 0B23E391
	v_mul_f32_e32 v146, v146, v242                             // 00000000FA48: 0B25E592
	v_mul_f32_e32 v147, v147, v243                             // 00000000FA4C: 0B27E793
	v_pk_mul_f32 v[4:5], v[148:149], v[148:149]                // 00000000FA50: D3B14004 18032994
	v_pk_mul_f32 v[6:7], v[150:151], v[150:151]                // 00000000FA58: D3B14006 18032D96
	v_pk_fma_f32 v[4:5], v[4:5], s[78:79], v[8:9]              // 00000000FA60: D3B04004 1C209D04
	v_pk_fma_f32 v[6:7], v[6:7], s[78:79], v[8:9]              // 00000000FA68: D3B04006 1C209D06
	v_pk_mul_f32 v[4:5], v[4:5], v[148:149]                    // 00000000FA70: D3B14004 18032904
	v_pk_mul_f32 v[6:7], v[6:7], v[150:151]                    // 00000000FA78: D3B14006 18032D06
	v_pk_mul_f32 v[4:5], v[4:5], s[60:61]                      // 00000000FA80: D3B14004 18007904
	v_pk_mul_f32 v[6:7], v[6:7], s[60:61]                      // 00000000FA88: D3B14006 18007906
	v_exp_f32_e32 v4, v4                                       // 00000000FA90: 7E084104
	v_exp_f32_e32 v5, v5                                       // 00000000FA94: 7E0A4105
	v_exp_f32_e32 v6, v6                                       // 00000000FA98: 7E0C4106
	v_exp_f32_e32 v7, v7                                       // 00000000FA9C: 7E0E4107
	v_add_f32_e64 v4, v4, 1.0                                  // 00000000FAA0: D1010004 0001E504
	v_add_f32_e64 v5, v5, 1.0                                  // 00000000FAA8: D1010005 0001E505
	v_add_f32_e64 v6, v6, 1.0                                  // 00000000FAB0: D1010006 0001E506
	v_add_f32_e64 v7, v7, 1.0                                  // 00000000FAB8: D1010007 0001E507
	v_rcp_f32_e32 v4, v4                                       // 00000000FAC0: 7E084504
	v_rcp_f32_e32 v5, v5                                       // 00000000FAC4: 7E0A4505
	v_rcp_f32_e32 v6, v6                                       // 00000000FAC8: 7E0C4506
	v_rcp_f32_e32 v7, v7                                       // 00000000FACC: 7E0E4507
	v_mul_f32_e32 v148, v148, v4                               // 00000000FAD0: 0B280994
	v_mul_f32_e32 v149, v149, v5                               // 00000000FAD4: 0B2A0B95
	v_mul_f32_e32 v150, v150, v6                               // 00000000FAD8: 0B2C0D96
	v_mul_f32_e32 v151, v151, v7                               // 00000000FADC: 0B2E0F97
	v_mul_f32_e32 v148, v148, v244                             // 00000000FAE0: 0B29E994
	v_mul_f32_e32 v149, v149, v245                             // 00000000FAE4: 0B2BEB95
	v_mul_f32_e32 v150, v150, v246                             // 00000000FAE8: 0B2DED96
	v_mul_f32_e32 v151, v151, v247                             // 00000000FAEC: 0B2FEF97
	v_pk_mul_f32 v[4:5], v[152:153], v[152:153]                // 00000000FAF0: D3B14004 18033198
	v_pk_mul_f32 v[6:7], v[154:155], v[154:155]                // 00000000FAF8: D3B14006 1803359A
	v_pk_fma_f32 v[4:5], v[4:5], s[78:79], v[8:9]              // 00000000FB00: D3B04004 1C209D04
	v_pk_fma_f32 v[6:7], v[6:7], s[78:79], v[8:9]              // 00000000FB08: D3B04006 1C209D06
	v_pk_mul_f32 v[4:5], v[4:5], v[152:153]                    // 00000000FB10: D3B14004 18033104
	v_pk_mul_f32 v[6:7], v[6:7], v[154:155]                    // 00000000FB18: D3B14006 18033506
	v_pk_mul_f32 v[4:5], v[4:5], s[60:61]                      // 00000000FB20: D3B14004 18007904
	v_pk_mul_f32 v[6:7], v[6:7], s[60:61]                      // 00000000FB28: D3B14006 18007906
	v_exp_f32_e32 v4, v4                                       // 00000000FB30: 7E084104
	v_exp_f32_e32 v5, v5                                       // 00000000FB34: 7E0A4105
	v_exp_f32_e32 v6, v6                                       // 00000000FB38: 7E0C4106
	v_exp_f32_e32 v7, v7                                       // 00000000FB3C: 7E0E4107
	v_add_f32_e64 v4, v4, 1.0                                  // 00000000FB40: D1010004 0001E504
	v_add_f32_e64 v5, v5, 1.0                                  // 00000000FB48: D1010005 0001E505
	v_add_f32_e64 v6, v6, 1.0                                  // 00000000FB50: D1010006 0001E506
	v_add_f32_e64 v7, v7, 1.0                                  // 00000000FB58: D1010007 0001E507
	v_rcp_f32_e32 v4, v4                                       // 00000000FB60: 7E084504
	v_rcp_f32_e32 v5, v5                                       // 00000000FB64: 7E0A4505
	v_rcp_f32_e32 v6, v6                                       // 00000000FB68: 7E0C4506
	v_rcp_f32_e32 v7, v7                                       // 00000000FB6C: 7E0E4507
	v_mul_f32_e32 v152, v152, v4                               // 00000000FB70: 0B300998
	v_mul_f32_e32 v153, v153, v5                               // 00000000FB74: 0B320B99
	v_mul_f32_e32 v154, v154, v6                               // 00000000FB78: 0B340D9A
	v_mul_f32_e32 v155, v155, v7                               // 00000000FB7C: 0B360F9B
	v_mul_f32_e32 v152, v152, v248                             // 00000000FB80: 0B31F198
	v_mul_f32_e32 v153, v153, v249                             // 00000000FB84: 0B33F399
	v_mul_f32_e32 v154, v154, v250                             // 00000000FB88: 0B35F59A
	v_mul_f32_e32 v155, v155, v251                             // 00000000FB8C: 0B37F79B
	s_branch label_3768                                        // 00000000FB90: BF820300

000000000000fb94 <label_3468>:
	v_mul_f32_e64 v4, -v60, s6                                 // 00000000FB94: D1050004 20000D3C
	v_mul_f32_e64 v5, -v61, s6                                 // 00000000FB9C: D1050005 20000D3D
	v_mul_f32_e64 v6, -v62, s6                                 // 00000000FBA4: D1050006 20000D3E
	v_mul_f32_e64 v7, -v63, s6                                 // 00000000FBAC: D1050007 20000D3F
	v_exp_f32_e32 v4, v4                                       // 00000000FBB4: 7E084104
	v_exp_f32_e32 v5, v5                                       // 00000000FBB8: 7E0A4105
	v_exp_f32_e32 v6, v6                                       // 00000000FBBC: 7E0C4106
	v_exp_f32_e32 v7, v7                                       // 00000000FBC0: 7E0E4107
	v_add_f32_e64 v4, v4, 1.0                                  // 00000000FBC4: D1010004 0001E504
	v_add_f32_e64 v5, v5, 1.0                                  // 00000000FBCC: D1010005 0001E505
	v_add_f32_e64 v6, v6, 1.0                                  // 00000000FBD4: D1010006 0001E506
	v_add_f32_e64 v7, v7, 1.0                                  // 00000000FBDC: D1010007 0001E507
	v_rcp_f32_e32 v4, v4                                       // 00000000FBE4: 7E084504
	v_rcp_f32_e32 v5, v5                                       // 00000000FBE8: 7E0A4505
	v_rcp_f32_e32 v6, v6                                       // 00000000FBEC: 7E0C4506
	v_rcp_f32_e32 v7, v7                                       // 00000000FBF0: 7E0E4507
	v_mul_f32_e32 v60, v60, v4                                 // 00000000FBF4: 0A78093C
	v_mul_f32_e32 v61, v61, v5                                 // 00000000FBF8: 0A7A0B3D
	v_mul_f32_e32 v62, v62, v6                                 // 00000000FBFC: 0A7C0D3E
	v_mul_f32_e32 v63, v63, v7                                 // 00000000FC00: 0A7E0F3F
	v_mul_f32_e32 v60, v60, v156                               // 00000000FC04: 0A79393C
	v_mul_f32_e32 v61, v61, v157                               // 00000000FC08: 0A7B3B3D
	v_mul_f32_e32 v62, v62, v158                               // 00000000FC0C: 0A7D3D3E
	v_mul_f32_e32 v63, v63, v159                               // 00000000FC10: 0A7F3F3F
	v_mul_f32_e64 v4, -v64, s6                                 // 00000000FC14: D1050004 20000D40
	v_mul_f32_e64 v5, -v65, s6                                 // 00000000FC1C: D1050005 20000D41
	v_mul_f32_e64 v6, -v66, s6                                 // 00000000FC24: D1050006 20000D42
	v_mul_f32_e64 v7, -v67, s6                                 // 00000000FC2C: D1050007 20000D43
	v_exp_f32_e32 v4, v4                                       // 00000000FC34: 7E084104
	v_exp_f32_e32 v5, v5                                       // 00000000FC38: 7E0A4105
	v_exp_f32_e32 v6, v6                                       // 00000000FC3C: 7E0C4106
	v_exp_f32_e32 v7, v7                                       // 00000000FC40: 7E0E4107
	v_add_f32_e64 v4, v4, 1.0                                  // 00000000FC44: D1010004 0001E504
	v_add_f32_e64 v5, v5, 1.0                                  // 00000000FC4C: D1010005 0001E505
	v_add_f32_e64 v6, v6, 1.0                                  // 00000000FC54: D1010006 0001E506
	v_add_f32_e64 v7, v7, 1.0                                  // 00000000FC5C: D1010007 0001E507
	v_rcp_f32_e32 v4, v4                                       // 00000000FC64: 7E084504
	v_rcp_f32_e32 v5, v5                                       // 00000000FC68: 7E0A4505
	v_rcp_f32_e32 v6, v6                                       // 00000000FC6C: 7E0C4506
	v_rcp_f32_e32 v7, v7                                       // 00000000FC70: 7E0E4507
	v_mul_f32_e32 v64, v64, v4                                 // 00000000FC74: 0A800940
	v_mul_f32_e32 v65, v65, v5                                 // 00000000FC78: 0A820B41
	v_mul_f32_e32 v66, v66, v6                                 // 00000000FC7C: 0A840D42
	v_mul_f32_e32 v67, v67, v7                                 // 00000000FC80: 0A860F43
	v_mul_f32_e32 v64, v64, v160                               // 00000000FC84: 0A814140
	v_mul_f32_e32 v65, v65, v161                               // 00000000FC88: 0A834341
	v_mul_f32_e32 v66, v66, v162                               // 00000000FC8C: 0A854542
	v_mul_f32_e32 v67, v67, v163                               // 00000000FC90: 0A874743
	v_mul_f32_e64 v4, -v68, s6                                 // 00000000FC94: D1050004 20000D44
	v_mul_f32_e64 v5, -v69, s6                                 // 00000000FC9C: D1050005 20000D45
	v_mul_f32_e64 v6, -v70, s6                                 // 00000000FCA4: D1050006 20000D46
	v_mul_f32_e64 v7, -v71, s6                                 // 00000000FCAC: D1050007 20000D47
	v_exp_f32_e32 v4, v4                                       // 00000000FCB4: 7E084104
	v_exp_f32_e32 v5, v5                                       // 00000000FCB8: 7E0A4105
	v_exp_f32_e32 v6, v6                                       // 00000000FCBC: 7E0C4106
	v_exp_f32_e32 v7, v7                                       // 00000000FCC0: 7E0E4107
	v_add_f32_e64 v4, v4, 1.0                                  // 00000000FCC4: D1010004 0001E504
	v_add_f32_e64 v5, v5, 1.0                                  // 00000000FCCC: D1010005 0001E505
	v_add_f32_e64 v6, v6, 1.0                                  // 00000000FCD4: D1010006 0001E506
	v_add_f32_e64 v7, v7, 1.0                                  // 00000000FCDC: D1010007 0001E507
	v_rcp_f32_e32 v4, v4                                       // 00000000FCE4: 7E084504
	v_rcp_f32_e32 v5, v5                                       // 00000000FCE8: 7E0A4505
	v_rcp_f32_e32 v6, v6                                       // 00000000FCEC: 7E0C4506
	v_rcp_f32_e32 v7, v7                                       // 00000000FCF0: 7E0E4507
	v_mul_f32_e32 v68, v68, v4                                 // 00000000FCF4: 0A880944
	v_mul_f32_e32 v69, v69, v5                                 // 00000000FCF8: 0A8A0B45
	v_mul_f32_e32 v70, v70, v6                                 // 00000000FCFC: 0A8C0D46
	v_mul_f32_e32 v71, v71, v7                                 // 00000000FD00: 0A8E0F47
	v_mul_f32_e32 v68, v68, v164                               // 00000000FD04: 0A894944
	v_mul_f32_e32 v69, v69, v165                               // 00000000FD08: 0A8B4B45
	v_mul_f32_e32 v70, v70, v166                               // 00000000FD0C: 0A8D4D46
	v_mul_f32_e32 v71, v71, v167                               // 00000000FD10: 0A8F4F47
	v_mul_f32_e64 v4, -v72, s6                                 // 00000000FD14: D1050004 20000D48
	v_mul_f32_e64 v5, -v73, s6                                 // 00000000FD1C: D1050005 20000D49
	v_mul_f32_e64 v6, -v74, s6                                 // 00000000FD24: D1050006 20000D4A
	v_mul_f32_e64 v7, -v75, s6                                 // 00000000FD2C: D1050007 20000D4B
	v_exp_f32_e32 v4, v4                                       // 00000000FD34: 7E084104
	v_exp_f32_e32 v5, v5                                       // 00000000FD38: 7E0A4105
	v_exp_f32_e32 v6, v6                                       // 00000000FD3C: 7E0C4106
	v_exp_f32_e32 v7, v7                                       // 00000000FD40: 7E0E4107
	v_add_f32_e64 v4, v4, 1.0                                  // 00000000FD44: D1010004 0001E504
	v_add_f32_e64 v5, v5, 1.0                                  // 00000000FD4C: D1010005 0001E505
	v_add_f32_e64 v6, v6, 1.0                                  // 00000000FD54: D1010006 0001E506
	v_add_f32_e64 v7, v7, 1.0                                  // 00000000FD5C: D1010007 0001E507
	v_rcp_f32_e32 v4, v4                                       // 00000000FD64: 7E084504
	v_rcp_f32_e32 v5, v5                                       // 00000000FD68: 7E0A4505
	v_rcp_f32_e32 v6, v6                                       // 00000000FD6C: 7E0C4506
	v_rcp_f32_e32 v7, v7                                       // 00000000FD70: 7E0E4507
	v_mul_f32_e32 v72, v72, v4                                 // 00000000FD74: 0A900948
	v_mul_f32_e32 v73, v73, v5                                 // 00000000FD78: 0A920B49
	v_mul_f32_e32 v74, v74, v6                                 // 00000000FD7C: 0A940D4A
	v_mul_f32_e32 v75, v75, v7                                 // 00000000FD80: 0A960F4B
	v_mul_f32_e32 v72, v72, v168                               // 00000000FD84: 0A915148
	v_mul_f32_e32 v73, v73, v169                               // 00000000FD88: 0A935349
	v_mul_f32_e32 v74, v74, v170                               // 00000000FD8C: 0A95554A
	v_mul_f32_e32 v75, v75, v171                               // 00000000FD90: 0A97574B
	v_mul_f32_e64 v4, -v76, s6                                 // 00000000FD94: D1050004 20000D4C
	v_mul_f32_e64 v5, -v77, s6                                 // 00000000FD9C: D1050005 20000D4D
	v_mul_f32_e64 v6, -v78, s6                                 // 00000000FDA4: D1050006 20000D4E
	v_mul_f32_e64 v7, -v79, s6                                 // 00000000FDAC: D1050007 20000D4F
	v_exp_f32_e32 v4, v4                                       // 00000000FDB4: 7E084104
	v_exp_f32_e32 v5, v5                                       // 00000000FDB8: 7E0A4105
	v_exp_f32_e32 v6, v6                                       // 00000000FDBC: 7E0C4106
	v_exp_f32_e32 v7, v7                                       // 00000000FDC0: 7E0E4107
	v_add_f32_e64 v4, v4, 1.0                                  // 00000000FDC4: D1010004 0001E504
	v_add_f32_e64 v5, v5, 1.0                                  // 00000000FDCC: D1010005 0001E505
	v_add_f32_e64 v6, v6, 1.0                                  // 00000000FDD4: D1010006 0001E506
	v_add_f32_e64 v7, v7, 1.0                                  // 00000000FDDC: D1010007 0001E507
	v_rcp_f32_e32 v4, v4                                       // 00000000FDE4: 7E084504
	v_rcp_f32_e32 v5, v5                                       // 00000000FDE8: 7E0A4505
	v_rcp_f32_e32 v6, v6                                       // 00000000FDEC: 7E0C4506
	v_rcp_f32_e32 v7, v7                                       // 00000000FDF0: 7E0E4507
	v_mul_f32_e32 v76, v76, v4                                 // 00000000FDF4: 0A98094C
	v_mul_f32_e32 v77, v77, v5                                 // 00000000FDF8: 0A9A0B4D
	v_mul_f32_e32 v78, v78, v6                                 // 00000000FDFC: 0A9C0D4E
	v_mul_f32_e32 v79, v79, v7                                 // 00000000FE00: 0A9E0F4F
	v_mul_f32_e32 v76, v76, v172                               // 00000000FE04: 0A99594C
	v_mul_f32_e32 v77, v77, v173                               // 00000000FE08: 0A9B5B4D
	v_mul_f32_e32 v78, v78, v174                               // 00000000FE0C: 0A9D5D4E
	v_mul_f32_e32 v79, v79, v175                               // 00000000FE10: 0A9F5F4F
	v_mul_f32_e64 v4, -v80, s6                                 // 00000000FE14: D1050004 20000D50
	v_mul_f32_e64 v5, -v81, s6                                 // 00000000FE1C: D1050005 20000D51
	v_mul_f32_e64 v6, -v82, s6                                 // 00000000FE24: D1050006 20000D52
	v_mul_f32_e64 v7, -v83, s6                                 // 00000000FE2C: D1050007 20000D53
	v_exp_f32_e32 v4, v4                                       // 00000000FE34: 7E084104
	v_exp_f32_e32 v5, v5                                       // 00000000FE38: 7E0A4105
	v_exp_f32_e32 v6, v6                                       // 00000000FE3C: 7E0C4106
	v_exp_f32_e32 v7, v7                                       // 00000000FE40: 7E0E4107
	v_add_f32_e64 v4, v4, 1.0                                  // 00000000FE44: D1010004 0001E504
	v_add_f32_e64 v5, v5, 1.0                                  // 00000000FE4C: D1010005 0001E505
	v_add_f32_e64 v6, v6, 1.0                                  // 00000000FE54: D1010006 0001E506
	v_add_f32_e64 v7, v7, 1.0                                  // 00000000FE5C: D1010007 0001E507
	v_rcp_f32_e32 v4, v4                                       // 00000000FE64: 7E084504
	v_rcp_f32_e32 v5, v5                                       // 00000000FE68: 7E0A4505
	v_rcp_f32_e32 v6, v6                                       // 00000000FE6C: 7E0C4506
	v_rcp_f32_e32 v7, v7                                       // 00000000FE70: 7E0E4507
	v_mul_f32_e32 v80, v80, v4                                 // 00000000FE74: 0AA00950
	v_mul_f32_e32 v81, v81, v5                                 // 00000000FE78: 0AA20B51
	v_mul_f32_e32 v82, v82, v6                                 // 00000000FE7C: 0AA40D52
	v_mul_f32_e32 v83, v83, v7                                 // 00000000FE80: 0AA60F53
	v_mul_f32_e32 v80, v80, v176                               // 00000000FE84: 0AA16150
	v_mul_f32_e32 v81, v81, v177                               // 00000000FE88: 0AA36351
	v_mul_f32_e32 v82, v82, v178                               // 00000000FE8C: 0AA56552
	v_mul_f32_e32 v83, v83, v179                               // 00000000FE90: 0AA76753
	v_mul_f32_e64 v4, -v84, s6                                 // 00000000FE94: D1050004 20000D54
	v_mul_f32_e64 v5, -v85, s6                                 // 00000000FE9C: D1050005 20000D55
	v_mul_f32_e64 v6, -v86, s6                                 // 00000000FEA4: D1050006 20000D56
	v_mul_f32_e64 v7, -v87, s6                                 // 00000000FEAC: D1050007 20000D57
	v_exp_f32_e32 v4, v4                                       // 00000000FEB4: 7E084104
	v_exp_f32_e32 v5, v5                                       // 00000000FEB8: 7E0A4105
	v_exp_f32_e32 v6, v6                                       // 00000000FEBC: 7E0C4106
	v_exp_f32_e32 v7, v7                                       // 00000000FEC0: 7E0E4107
	v_add_f32_e64 v4, v4, 1.0                                  // 00000000FEC4: D1010004 0001E504
	v_add_f32_e64 v5, v5, 1.0                                  // 00000000FECC: D1010005 0001E505
	v_add_f32_e64 v6, v6, 1.0                                  // 00000000FED4: D1010006 0001E506
	v_add_f32_e64 v7, v7, 1.0                                  // 00000000FEDC: D1010007 0001E507
	v_rcp_f32_e32 v4, v4                                       // 00000000FEE4: 7E084504
	v_rcp_f32_e32 v5, v5                                       // 00000000FEE8: 7E0A4505
	v_rcp_f32_e32 v6, v6                                       // 00000000FEEC: 7E0C4506
	v_rcp_f32_e32 v7, v7                                       // 00000000FEF0: 7E0E4507
	v_mul_f32_e32 v84, v84, v4                                 // 00000000FEF4: 0AA80954
	v_mul_f32_e32 v85, v85, v5                                 // 00000000FEF8: 0AAA0B55
	v_mul_f32_e32 v86, v86, v6                                 // 00000000FEFC: 0AAC0D56
	v_mul_f32_e32 v87, v87, v7                                 // 00000000FF00: 0AAE0F57
	v_mul_f32_e32 v84, v84, v180                               // 00000000FF04: 0AA96954
	v_mul_f32_e32 v85, v85, v181                               // 00000000FF08: 0AAB6B55
	v_mul_f32_e32 v86, v86, v182                               // 00000000FF0C: 0AAD6D56
	v_mul_f32_e32 v87, v87, v183                               // 00000000FF10: 0AAF6F57
	v_mul_f32_e64 v4, -v88, s6                                 // 00000000FF14: D1050004 20000D58
	v_mul_f32_e64 v5, -v89, s6                                 // 00000000FF1C: D1050005 20000D59
	v_mul_f32_e64 v6, -v90, s6                                 // 00000000FF24: D1050006 20000D5A
	v_mul_f32_e64 v7, -v91, s6                                 // 00000000FF2C: D1050007 20000D5B
	v_exp_f32_e32 v4, v4                                       // 00000000FF34: 7E084104
	v_exp_f32_e32 v5, v5                                       // 00000000FF38: 7E0A4105
	v_exp_f32_e32 v6, v6                                       // 00000000FF3C: 7E0C4106
	v_exp_f32_e32 v7, v7                                       // 00000000FF40: 7E0E4107
	v_add_f32_e64 v4, v4, 1.0                                  // 00000000FF44: D1010004 0001E504
	v_add_f32_e64 v5, v5, 1.0                                  // 00000000FF4C: D1010005 0001E505
	v_add_f32_e64 v6, v6, 1.0                                  // 00000000FF54: D1010006 0001E506
	v_add_f32_e64 v7, v7, 1.0                                  // 00000000FF5C: D1010007 0001E507
	v_rcp_f32_e32 v4, v4                                       // 00000000FF64: 7E084504
	v_rcp_f32_e32 v5, v5                                       // 00000000FF68: 7E0A4505
	v_rcp_f32_e32 v6, v6                                       // 00000000FF6C: 7E0C4506
	v_rcp_f32_e32 v7, v7                                       // 00000000FF70: 7E0E4507
	v_mul_f32_e32 v88, v88, v4                                 // 00000000FF74: 0AB00958
	v_mul_f32_e32 v89, v89, v5                                 // 00000000FF78: 0AB20B59
	v_mul_f32_e32 v90, v90, v6                                 // 00000000FF7C: 0AB40D5A
	v_mul_f32_e32 v91, v91, v7                                 // 00000000FF80: 0AB60F5B
	v_mul_f32_e32 v88, v88, v184                               // 00000000FF84: 0AB17158
	v_mul_f32_e32 v89, v89, v185                               // 00000000FF88: 0AB37359
	v_mul_f32_e32 v90, v90, v186                               // 00000000FF8C: 0AB5755A
	v_mul_f32_e32 v91, v91, v187                               // 00000000FF90: 0AB7775B
	v_mul_f32_e64 v4, -v92, s6                                 // 00000000FF94: D1050004 20000D5C
	v_mul_f32_e64 v5, -v93, s6                                 // 00000000FF9C: D1050005 20000D5D
	v_mul_f32_e64 v6, -v94, s6                                 // 00000000FFA4: D1050006 20000D5E
	v_mul_f32_e64 v7, -v95, s6                                 // 00000000FFAC: D1050007 20000D5F
	v_exp_f32_e32 v4, v4                                       // 00000000FFB4: 7E084104
	v_exp_f32_e32 v5, v5                                       // 00000000FFB8: 7E0A4105
	v_exp_f32_e32 v6, v6                                       // 00000000FFBC: 7E0C4106
	v_exp_f32_e32 v7, v7                                       // 00000000FFC0: 7E0E4107
	v_add_f32_e64 v4, v4, 1.0                                  // 00000000FFC4: D1010004 0001E504
	v_add_f32_e64 v5, v5, 1.0                                  // 00000000FFCC: D1010005 0001E505
	v_add_f32_e64 v6, v6, 1.0                                  // 00000000FFD4: D1010006 0001E506
	v_add_f32_e64 v7, v7, 1.0                                  // 00000000FFDC: D1010007 0001E507
	v_rcp_f32_e32 v4, v4                                       // 00000000FFE4: 7E084504
	v_rcp_f32_e32 v5, v5                                       // 00000000FFE8: 7E0A4505
	v_rcp_f32_e32 v6, v6                                       // 00000000FFEC: 7E0C4506
	v_rcp_f32_e32 v7, v7                                       // 00000000FFF0: 7E0E4507
	v_mul_f32_e32 v92, v92, v4                                 // 00000000FFF4: 0AB8095C
	v_mul_f32_e32 v93, v93, v5                                 // 00000000FFF8: 0ABA0B5D
	v_mul_f32_e32 v94, v94, v6                                 // 00000000FFFC: 0ABC0D5E
	v_mul_f32_e32 v95, v95, v7                                 // 000000010000: 0ABE0F5F
	v_mul_f32_e32 v92, v92, v188                               // 000000010004: 0AB9795C
	v_mul_f32_e32 v93, v93, v189                               // 000000010008: 0ABB7B5D
	v_mul_f32_e32 v94, v94, v190                               // 00000001000C: 0ABD7D5E
	v_mul_f32_e32 v95, v95, v191                               // 000000010010: 0ABF7F5F
	v_mul_f32_e64 v4, -v96, s6                                 // 000000010014: D1050004 20000D60
	v_mul_f32_e64 v5, -v97, s6                                 // 00000001001C: D1050005 20000D61
	v_mul_f32_e64 v6, -v98, s6                                 // 000000010024: D1050006 20000D62
	v_mul_f32_e64 v7, -v99, s6                                 // 00000001002C: D1050007 20000D63
	v_exp_f32_e32 v4, v4                                       // 000000010034: 7E084104
	v_exp_f32_e32 v5, v5                                       // 000000010038: 7E0A4105
	v_exp_f32_e32 v6, v6                                       // 00000001003C: 7E0C4106
	v_exp_f32_e32 v7, v7                                       // 000000010040: 7E0E4107
	v_add_f32_e64 v4, v4, 1.0                                  // 000000010044: D1010004 0001E504
	v_add_f32_e64 v5, v5, 1.0                                  // 00000001004C: D1010005 0001E505
	v_add_f32_e64 v6, v6, 1.0                                  // 000000010054: D1010006 0001E506
	v_add_f32_e64 v7, v7, 1.0                                  // 00000001005C: D1010007 0001E507
	v_rcp_f32_e32 v4, v4                                       // 000000010064: 7E084504
	v_rcp_f32_e32 v5, v5                                       // 000000010068: 7E0A4505
	v_rcp_f32_e32 v6, v6                                       // 00000001006C: 7E0C4506
	v_rcp_f32_e32 v7, v7                                       // 000000010070: 7E0E4507
	v_mul_f32_e32 v96, v96, v4                                 // 000000010074: 0AC00960
	v_mul_f32_e32 v97, v97, v5                                 // 000000010078: 0AC20B61
	v_mul_f32_e32 v98, v98, v6                                 // 00000001007C: 0AC40D62
	v_mul_f32_e32 v99, v99, v7                                 // 000000010080: 0AC60F63
	v_mul_f32_e32 v96, v96, v192                               // 000000010084: 0AC18160
	v_mul_f32_e32 v97, v97, v193                               // 000000010088: 0AC38361
	v_mul_f32_e32 v98, v98, v194                               // 00000001008C: 0AC58562
	v_mul_f32_e32 v99, v99, v195                               // 000000010090: 0AC78763
	v_mul_f32_e64 v4, -v100, s6                                // 000000010094: D1050004 20000D64
	v_mul_f32_e64 v5, -v101, s6                                // 00000001009C: D1050005 20000D65
	v_mul_f32_e64 v6, -v102, s6                                // 0000000100A4: D1050006 20000D66
	v_mul_f32_e64 v7, -v103, s6                                // 0000000100AC: D1050007 20000D67
	v_exp_f32_e32 v4, v4                                       // 0000000100B4: 7E084104
	v_exp_f32_e32 v5, v5                                       // 0000000100B8: 7E0A4105
	v_exp_f32_e32 v6, v6                                       // 0000000100BC: 7E0C4106
	v_exp_f32_e32 v7, v7                                       // 0000000100C0: 7E0E4107
	v_add_f32_e64 v4, v4, 1.0                                  // 0000000100C4: D1010004 0001E504
	v_add_f32_e64 v5, v5, 1.0                                  // 0000000100CC: D1010005 0001E505
	v_add_f32_e64 v6, v6, 1.0                                  // 0000000100D4: D1010006 0001E506
	v_add_f32_e64 v7, v7, 1.0                                  // 0000000100DC: D1010007 0001E507
	v_rcp_f32_e32 v4, v4                                       // 0000000100E4: 7E084504
	v_rcp_f32_e32 v5, v5                                       // 0000000100E8: 7E0A4505
	v_rcp_f32_e32 v6, v6                                       // 0000000100EC: 7E0C4506
	v_rcp_f32_e32 v7, v7                                       // 0000000100F0: 7E0E4507
	v_mul_f32_e32 v100, v100, v4                               // 0000000100F4: 0AC80964
	v_mul_f32_e32 v101, v101, v5                               // 0000000100F8: 0ACA0B65
	v_mul_f32_e32 v102, v102, v6                               // 0000000100FC: 0ACC0D66
	v_mul_f32_e32 v103, v103, v7                               // 000000010100: 0ACE0F67
	v_mul_f32_e32 v100, v100, v196                             // 000000010104: 0AC98964
	v_mul_f32_e32 v101, v101, v197                             // 000000010108: 0ACB8B65
	v_mul_f32_e32 v102, v102, v198                             // 00000001010C: 0ACD8D66
	v_mul_f32_e32 v103, v103, v199                             // 000000010110: 0ACF8F67
	v_mul_f32_e64 v4, -v104, s6                                // 000000010114: D1050004 20000D68
	v_mul_f32_e64 v5, -v105, s6                                // 00000001011C: D1050005 20000D69
	v_mul_f32_e64 v6, -v106, s6                                // 000000010124: D1050006 20000D6A
	v_mul_f32_e64 v7, -v107, s6                                // 00000001012C: D1050007 20000D6B
	v_exp_f32_e32 v4, v4                                       // 000000010134: 7E084104
	v_exp_f32_e32 v5, v5                                       // 000000010138: 7E0A4105
	v_exp_f32_e32 v6, v6                                       // 00000001013C: 7E0C4106
	v_exp_f32_e32 v7, v7                                       // 000000010140: 7E0E4107
	v_add_f32_e64 v4, v4, 1.0                                  // 000000010144: D1010004 0001E504
	v_add_f32_e64 v5, v5, 1.0                                  // 00000001014C: D1010005 0001E505
	v_add_f32_e64 v6, v6, 1.0                                  // 000000010154: D1010006 0001E506
	v_add_f32_e64 v7, v7, 1.0                                  // 00000001015C: D1010007 0001E507
	v_rcp_f32_e32 v4, v4                                       // 000000010164: 7E084504
	v_rcp_f32_e32 v5, v5                                       // 000000010168: 7E0A4505
	v_rcp_f32_e32 v6, v6                                       // 00000001016C: 7E0C4506
	v_rcp_f32_e32 v7, v7                                       // 000000010170: 7E0E4507
	v_mul_f32_e32 v104, v104, v4                               // 000000010174: 0AD00968
	v_mul_f32_e32 v105, v105, v5                               // 000000010178: 0AD20B69
	v_mul_f32_e32 v106, v106, v6                               // 00000001017C: 0AD40D6A
	v_mul_f32_e32 v107, v107, v7                               // 000000010180: 0AD60F6B
	v_mul_f32_e32 v104, v104, v200                             // 000000010184: 0AD19168
	v_mul_f32_e32 v105, v105, v201                             // 000000010188: 0AD39369
	v_mul_f32_e32 v106, v106, v202                             // 00000001018C: 0AD5956A
	v_mul_f32_e32 v107, v107, v203                             // 000000010190: 0AD7976B
	v_mul_f32_e64 v4, -v108, s6                                // 000000010194: D1050004 20000D6C
	v_mul_f32_e64 v5, -v109, s6                                // 00000001019C: D1050005 20000D6D
	v_mul_f32_e64 v6, -v110, s6                                // 0000000101A4: D1050006 20000D6E
	v_mul_f32_e64 v7, -v111, s6                                // 0000000101AC: D1050007 20000D6F
	v_exp_f32_e32 v4, v4                                       // 0000000101B4: 7E084104
	v_exp_f32_e32 v5, v5                                       // 0000000101B8: 7E0A4105
	v_exp_f32_e32 v6, v6                                       // 0000000101BC: 7E0C4106
	v_exp_f32_e32 v7, v7                                       // 0000000101C0: 7E0E4107
	v_add_f32_e64 v4, v4, 1.0                                  // 0000000101C4: D1010004 0001E504
	v_add_f32_e64 v5, v5, 1.0                                  // 0000000101CC: D1010005 0001E505
	v_add_f32_e64 v6, v6, 1.0                                  // 0000000101D4: D1010006 0001E506
	v_add_f32_e64 v7, v7, 1.0                                  // 0000000101DC: D1010007 0001E507
	v_rcp_f32_e32 v4, v4                                       // 0000000101E4: 7E084504
	v_rcp_f32_e32 v5, v5                                       // 0000000101E8: 7E0A4505
	v_rcp_f32_e32 v6, v6                                       // 0000000101EC: 7E0C4506
	v_rcp_f32_e32 v7, v7                                       // 0000000101F0: 7E0E4507
	v_mul_f32_e32 v108, v108, v4                               // 0000000101F4: 0AD8096C
	v_mul_f32_e32 v109, v109, v5                               // 0000000101F8: 0ADA0B6D
	v_mul_f32_e32 v110, v110, v6                               // 0000000101FC: 0ADC0D6E
	v_mul_f32_e32 v111, v111, v7                               // 000000010200: 0ADE0F6F
	v_mul_f32_e32 v108, v108, v204                             // 000000010204: 0AD9996C
	v_mul_f32_e32 v109, v109, v205                             // 000000010208: 0ADB9B6D
	v_mul_f32_e32 v110, v110, v206                             // 00000001020C: 0ADD9D6E
	v_mul_f32_e32 v111, v111, v207                             // 000000010210: 0ADF9F6F
	v_mul_f32_e64 v4, -v112, s6                                // 000000010214: D1050004 20000D70
	v_mul_f32_e64 v5, -v113, s6                                // 00000001021C: D1050005 20000D71
	v_mul_f32_e64 v6, -v114, s6                                // 000000010224: D1050006 20000D72
	v_mul_f32_e64 v7, -v115, s6                                // 00000001022C: D1050007 20000D73
	v_exp_f32_e32 v4, v4                                       // 000000010234: 7E084104
	v_exp_f32_e32 v5, v5                                       // 000000010238: 7E0A4105
	v_exp_f32_e32 v6, v6                                       // 00000001023C: 7E0C4106
	v_exp_f32_e32 v7, v7                                       // 000000010240: 7E0E4107
	v_add_f32_e64 v4, v4, 1.0                                  // 000000010244: D1010004 0001E504
	v_add_f32_e64 v5, v5, 1.0                                  // 00000001024C: D1010005 0001E505
	v_add_f32_e64 v6, v6, 1.0                                  // 000000010254: D1010006 0001E506
	v_add_f32_e64 v7, v7, 1.0                                  // 00000001025C: D1010007 0001E507
	v_rcp_f32_e32 v4, v4                                       // 000000010264: 7E084504
	v_rcp_f32_e32 v5, v5                                       // 000000010268: 7E0A4505
	v_rcp_f32_e32 v6, v6                                       // 00000001026C: 7E0C4506
	v_rcp_f32_e32 v7, v7                                       // 000000010270: 7E0E4507
	v_mul_f32_e32 v112, v112, v4                               // 000000010274: 0AE00970
	v_mul_f32_e32 v113, v113, v5                               // 000000010278: 0AE20B71
	v_mul_f32_e32 v114, v114, v6                               // 00000001027C: 0AE40D72
	v_mul_f32_e32 v115, v115, v7                               // 000000010280: 0AE60F73
	v_mul_f32_e32 v112, v112, v208                             // 000000010284: 0AE1A170
	v_mul_f32_e32 v113, v113, v209                             // 000000010288: 0AE3A371
	v_mul_f32_e32 v114, v114, v210                             // 00000001028C: 0AE5A572
	v_mul_f32_e32 v115, v115, v211                             // 000000010290: 0AE7A773
	v_mul_f32_e64 v4, -v116, s6                                // 000000010294: D1050004 20000D74
	v_mul_f32_e64 v5, -v117, s6                                // 00000001029C: D1050005 20000D75
	v_mul_f32_e64 v6, -v118, s6                                // 0000000102A4: D1050006 20000D76
	v_mul_f32_e64 v7, -v119, s6                                // 0000000102AC: D1050007 20000D77
	v_exp_f32_e32 v4, v4                                       // 0000000102B4: 7E084104
	v_exp_f32_e32 v5, v5                                       // 0000000102B8: 7E0A4105
	v_exp_f32_e32 v6, v6                                       // 0000000102BC: 7E0C4106
	v_exp_f32_e32 v7, v7                                       // 0000000102C0: 7E0E4107
	v_add_f32_e64 v4, v4, 1.0                                  // 0000000102C4: D1010004 0001E504
	v_add_f32_e64 v5, v5, 1.0                                  // 0000000102CC: D1010005 0001E505
	v_add_f32_e64 v6, v6, 1.0                                  // 0000000102D4: D1010006 0001E506
	v_add_f32_e64 v7, v7, 1.0                                  // 0000000102DC: D1010007 0001E507
	v_rcp_f32_e32 v4, v4                                       // 0000000102E4: 7E084504
	v_rcp_f32_e32 v5, v5                                       // 0000000102E8: 7E0A4505
	v_rcp_f32_e32 v6, v6                                       // 0000000102EC: 7E0C4506
	v_rcp_f32_e32 v7, v7                                       // 0000000102F0: 7E0E4507
	v_mul_f32_e32 v116, v116, v4                               // 0000000102F4: 0AE80974
	v_mul_f32_e32 v117, v117, v5                               // 0000000102F8: 0AEA0B75
	v_mul_f32_e32 v118, v118, v6                               // 0000000102FC: 0AEC0D76
	v_mul_f32_e32 v119, v119, v7                               // 000000010300: 0AEE0F77
	v_mul_f32_e32 v116, v116, v212                             // 000000010304: 0AE9A974
	v_mul_f32_e32 v117, v117, v213                             // 000000010308: 0AEBAB75
	v_mul_f32_e32 v118, v118, v214                             // 00000001030C: 0AEDAD76
	v_mul_f32_e32 v119, v119, v215                             // 000000010310: 0AEFAF77
	v_mul_f32_e64 v4, -v120, s6                                // 000000010314: D1050004 20000D78
	v_mul_f32_e64 v5, -v121, s6                                // 00000001031C: D1050005 20000D79
	v_mul_f32_e64 v6, -v122, s6                                // 000000010324: D1050006 20000D7A
	v_mul_f32_e64 v7, -v123, s6                                // 00000001032C: D1050007 20000D7B
	v_exp_f32_e32 v4, v4                                       // 000000010334: 7E084104
	v_exp_f32_e32 v5, v5                                       // 000000010338: 7E0A4105
	v_exp_f32_e32 v6, v6                                       // 00000001033C: 7E0C4106
	v_exp_f32_e32 v7, v7                                       // 000000010340: 7E0E4107
	v_add_f32_e64 v4, v4, 1.0                                  // 000000010344: D1010004 0001E504
	v_add_f32_e64 v5, v5, 1.0                                  // 00000001034C: D1010005 0001E505
	v_add_f32_e64 v6, v6, 1.0                                  // 000000010354: D1010006 0001E506
	v_add_f32_e64 v7, v7, 1.0                                  // 00000001035C: D1010007 0001E507
	v_rcp_f32_e32 v4, v4                                       // 000000010364: 7E084504
	v_rcp_f32_e32 v5, v5                                       // 000000010368: 7E0A4505
	v_rcp_f32_e32 v6, v6                                       // 00000001036C: 7E0C4506
	v_rcp_f32_e32 v7, v7                                       // 000000010370: 7E0E4507
	v_mul_f32_e32 v120, v120, v4                               // 000000010374: 0AF00978
	v_mul_f32_e32 v121, v121, v5                               // 000000010378: 0AF20B79
	v_mul_f32_e32 v122, v122, v6                               // 00000001037C: 0AF40D7A
	v_mul_f32_e32 v123, v123, v7                               // 000000010380: 0AF60F7B
	v_mul_f32_e32 v120, v120, v216                             // 000000010384: 0AF1B178
	v_mul_f32_e32 v121, v121, v217                             // 000000010388: 0AF3B379
	v_mul_f32_e32 v122, v122, v218                             // 00000001038C: 0AF5B57A
	v_mul_f32_e32 v123, v123, v219                             // 000000010390: 0AF7B77B
	v_mul_f32_e64 v4, -v124, s6                                // 000000010394: D1050004 20000D7C
	v_mul_f32_e64 v5, -v125, s6                                // 00000001039C: D1050005 20000D7D
	v_mul_f32_e64 v6, -v126, s6                                // 0000000103A4: D1050006 20000D7E
	v_mul_f32_e64 v7, -v127, s6                                // 0000000103AC: D1050007 20000D7F
	v_exp_f32_e32 v4, v4                                       // 0000000103B4: 7E084104
	v_exp_f32_e32 v5, v5                                       // 0000000103B8: 7E0A4105
	v_exp_f32_e32 v6, v6                                       // 0000000103BC: 7E0C4106
	v_exp_f32_e32 v7, v7                                       // 0000000103C0: 7E0E4107
	v_add_f32_e64 v4, v4, 1.0                                  // 0000000103C4: D1010004 0001E504
	v_add_f32_e64 v5, v5, 1.0                                  // 0000000103CC: D1010005 0001E505
	v_add_f32_e64 v6, v6, 1.0                                  // 0000000103D4: D1010006 0001E506
	v_add_f32_e64 v7, v7, 1.0                                  // 0000000103DC: D1010007 0001E507
	v_rcp_f32_e32 v4, v4                                       // 0000000103E4: 7E084504
	v_rcp_f32_e32 v5, v5                                       // 0000000103E8: 7E0A4505
	v_rcp_f32_e32 v6, v6                                       // 0000000103EC: 7E0C4506
	v_rcp_f32_e32 v7, v7                                       // 0000000103F0: 7E0E4507
	v_mul_f32_e32 v124, v124, v4                               // 0000000103F4: 0AF8097C
	v_mul_f32_e32 v125, v125, v5                               // 0000000103F8: 0AFA0B7D
	v_mul_f32_e32 v126, v126, v6                               // 0000000103FC: 0AFC0D7E
	v_mul_f32_e32 v127, v127, v7                               // 000000010400: 0AFE0F7F
	v_mul_f32_e32 v124, v124, v220                             // 000000010404: 0AF9B97C
	v_mul_f32_e32 v125, v125, v221                             // 000000010408: 0AFBBB7D
	v_mul_f32_e32 v126, v126, v222                             // 00000001040C: 0AFDBD7E
	v_mul_f32_e32 v127, v127, v223                             // 000000010410: 0AFFBF7F
	v_mul_f32_e64 v4, -v128, s6                                // 000000010414: D1050004 20000D80
	v_mul_f32_e64 v5, -v129, s6                                // 00000001041C: D1050005 20000D81
	v_mul_f32_e64 v6, -v130, s6                                // 000000010424: D1050006 20000D82
	v_mul_f32_e64 v7, -v131, s6                                // 00000001042C: D1050007 20000D83
	v_exp_f32_e32 v4, v4                                       // 000000010434: 7E084104
	v_exp_f32_e32 v5, v5                                       // 000000010438: 7E0A4105
	v_exp_f32_e32 v6, v6                                       // 00000001043C: 7E0C4106
	v_exp_f32_e32 v7, v7                                       // 000000010440: 7E0E4107
	v_add_f32_e64 v4, v4, 1.0                                  // 000000010444: D1010004 0001E504
	v_add_f32_e64 v5, v5, 1.0                                  // 00000001044C: D1010005 0001E505
	v_add_f32_e64 v6, v6, 1.0                                  // 000000010454: D1010006 0001E506
	v_add_f32_e64 v7, v7, 1.0                                  // 00000001045C: D1010007 0001E507
	v_rcp_f32_e32 v4, v4                                       // 000000010464: 7E084504
	v_rcp_f32_e32 v5, v5                                       // 000000010468: 7E0A4505
	v_rcp_f32_e32 v6, v6                                       // 00000001046C: 7E0C4506
	v_rcp_f32_e32 v7, v7                                       // 000000010470: 7E0E4507
	v_mul_f32_e32 v128, v128, v4                               // 000000010474: 0B000980
	v_mul_f32_e32 v129, v129, v5                               // 000000010478: 0B020B81
	v_mul_f32_e32 v130, v130, v6                               // 00000001047C: 0B040D82
	v_mul_f32_e32 v131, v131, v7                               // 000000010480: 0B060F83
	v_mul_f32_e32 v128, v128, v224                             // 000000010484: 0B01C180
	v_mul_f32_e32 v129, v129, v225                             // 000000010488: 0B03C381
	v_mul_f32_e32 v130, v130, v226                             // 00000001048C: 0B05C582
	v_mul_f32_e32 v131, v131, v227                             // 000000010490: 0B07C783
	v_mul_f32_e64 v4, -v132, s6                                // 000000010494: D1050004 20000D84
	v_mul_f32_e64 v5, -v133, s6                                // 00000001049C: D1050005 20000D85
	v_mul_f32_e64 v6, -v134, s6                                // 0000000104A4: D1050006 20000D86
	v_mul_f32_e64 v7, -v135, s6                                // 0000000104AC: D1050007 20000D87
	v_exp_f32_e32 v4, v4                                       // 0000000104B4: 7E084104
	v_exp_f32_e32 v5, v5                                       // 0000000104B8: 7E0A4105
	v_exp_f32_e32 v6, v6                                       // 0000000104BC: 7E0C4106
	v_exp_f32_e32 v7, v7                                       // 0000000104C0: 7E0E4107
	v_add_f32_e64 v4, v4, 1.0                                  // 0000000104C4: D1010004 0001E504
	v_add_f32_e64 v5, v5, 1.0                                  // 0000000104CC: D1010005 0001E505
	v_add_f32_e64 v6, v6, 1.0                                  // 0000000104D4: D1010006 0001E506
	v_add_f32_e64 v7, v7, 1.0                                  // 0000000104DC: D1010007 0001E507
	v_rcp_f32_e32 v4, v4                                       // 0000000104E4: 7E084504
	v_rcp_f32_e32 v5, v5                                       // 0000000104E8: 7E0A4505
	v_rcp_f32_e32 v6, v6                                       // 0000000104EC: 7E0C4506
	v_rcp_f32_e32 v7, v7                                       // 0000000104F0: 7E0E4507
	v_mul_f32_e32 v132, v132, v4                               // 0000000104F4: 0B080984
	v_mul_f32_e32 v133, v133, v5                               // 0000000104F8: 0B0A0B85
	v_mul_f32_e32 v134, v134, v6                               // 0000000104FC: 0B0C0D86
	v_mul_f32_e32 v135, v135, v7                               // 000000010500: 0B0E0F87
	v_mul_f32_e32 v132, v132, v228                             // 000000010504: 0B09C984
	v_mul_f32_e32 v133, v133, v229                             // 000000010508: 0B0BCB85
	v_mul_f32_e32 v134, v134, v230                             // 00000001050C: 0B0DCD86
	v_mul_f32_e32 v135, v135, v231                             // 000000010510: 0B0FCF87
	v_mul_f32_e64 v4, -v136, s6                                // 000000010514: D1050004 20000D88
	v_mul_f32_e64 v5, -v137, s6                                // 00000001051C: D1050005 20000D89
	v_mul_f32_e64 v6, -v138, s6                                // 000000010524: D1050006 20000D8A
	v_mul_f32_e64 v7, -v139, s6                                // 00000001052C: D1050007 20000D8B
	v_exp_f32_e32 v4, v4                                       // 000000010534: 7E084104
	v_exp_f32_e32 v5, v5                                       // 000000010538: 7E0A4105
	v_exp_f32_e32 v6, v6                                       // 00000001053C: 7E0C4106
	v_exp_f32_e32 v7, v7                                       // 000000010540: 7E0E4107
	v_add_f32_e64 v4, v4, 1.0                                  // 000000010544: D1010004 0001E504
	v_add_f32_e64 v5, v5, 1.0                                  // 00000001054C: D1010005 0001E505
	v_add_f32_e64 v6, v6, 1.0                                  // 000000010554: D1010006 0001E506
	v_add_f32_e64 v7, v7, 1.0                                  // 00000001055C: D1010007 0001E507
	v_rcp_f32_e32 v4, v4                                       // 000000010564: 7E084504
	v_rcp_f32_e32 v5, v5                                       // 000000010568: 7E0A4505
	v_rcp_f32_e32 v6, v6                                       // 00000001056C: 7E0C4506
	v_rcp_f32_e32 v7, v7                                       // 000000010570: 7E0E4507
	v_mul_f32_e32 v136, v136, v4                               // 000000010574: 0B100988
	v_mul_f32_e32 v137, v137, v5                               // 000000010578: 0B120B89
	v_mul_f32_e32 v138, v138, v6                               // 00000001057C: 0B140D8A
	v_mul_f32_e32 v139, v139, v7                               // 000000010580: 0B160F8B
	v_mul_f32_e32 v136, v136, v232                             // 000000010584: 0B11D188
	v_mul_f32_e32 v137, v137, v233                             // 000000010588: 0B13D389
	v_mul_f32_e32 v138, v138, v234                             // 00000001058C: 0B15D58A
	v_mul_f32_e32 v139, v139, v235                             // 000000010590: 0B17D78B
	v_mul_f32_e64 v4, -v140, s6                                // 000000010594: D1050004 20000D8C
	v_mul_f32_e64 v5, -v141, s6                                // 00000001059C: D1050005 20000D8D
	v_mul_f32_e64 v6, -v142, s6                                // 0000000105A4: D1050006 20000D8E
	v_mul_f32_e64 v7, -v143, s6                                // 0000000105AC: D1050007 20000D8F
	v_exp_f32_e32 v4, v4                                       // 0000000105B4: 7E084104
	v_exp_f32_e32 v5, v5                                       // 0000000105B8: 7E0A4105
	v_exp_f32_e32 v6, v6                                       // 0000000105BC: 7E0C4106
	v_exp_f32_e32 v7, v7                                       // 0000000105C0: 7E0E4107
	v_add_f32_e64 v4, v4, 1.0                                  // 0000000105C4: D1010004 0001E504
	v_add_f32_e64 v5, v5, 1.0                                  // 0000000105CC: D1010005 0001E505
	v_add_f32_e64 v6, v6, 1.0                                  // 0000000105D4: D1010006 0001E506
	v_add_f32_e64 v7, v7, 1.0                                  // 0000000105DC: D1010007 0001E507
	v_rcp_f32_e32 v4, v4                                       // 0000000105E4: 7E084504
	v_rcp_f32_e32 v5, v5                                       // 0000000105E8: 7E0A4505
	v_rcp_f32_e32 v6, v6                                       // 0000000105EC: 7E0C4506
	v_rcp_f32_e32 v7, v7                                       // 0000000105F0: 7E0E4507
	v_mul_f32_e32 v140, v140, v4                               // 0000000105F4: 0B18098C
	v_mul_f32_e32 v141, v141, v5                               // 0000000105F8: 0B1A0B8D
	v_mul_f32_e32 v142, v142, v6                               // 0000000105FC: 0B1C0D8E
	v_mul_f32_e32 v143, v143, v7                               // 000000010600: 0B1E0F8F
	v_mul_f32_e32 v140, v140, v236                             // 000000010604: 0B19D98C
	v_mul_f32_e32 v141, v141, v237                             // 000000010608: 0B1BDB8D
	v_mul_f32_e32 v142, v142, v238                             // 00000001060C: 0B1DDD8E
	v_mul_f32_e32 v143, v143, v239                             // 000000010610: 0B1FDF8F
	v_mul_f32_e64 v4, -v144, s6                                // 000000010614: D1050004 20000D90
	v_mul_f32_e64 v5, -v145, s6                                // 00000001061C: D1050005 20000D91
	v_mul_f32_e64 v6, -v146, s6                                // 000000010624: D1050006 20000D92
	v_mul_f32_e64 v7, -v147, s6                                // 00000001062C: D1050007 20000D93
	v_exp_f32_e32 v4, v4                                       // 000000010634: 7E084104
	v_exp_f32_e32 v5, v5                                       // 000000010638: 7E0A4105
	v_exp_f32_e32 v6, v6                                       // 00000001063C: 7E0C4106
	v_exp_f32_e32 v7, v7                                       // 000000010640: 7E0E4107
	v_add_f32_e64 v4, v4, 1.0                                  // 000000010644: D1010004 0001E504
	v_add_f32_e64 v5, v5, 1.0                                  // 00000001064C: D1010005 0001E505
	v_add_f32_e64 v6, v6, 1.0                                  // 000000010654: D1010006 0001E506
	v_add_f32_e64 v7, v7, 1.0                                  // 00000001065C: D1010007 0001E507
	v_rcp_f32_e32 v4, v4                                       // 000000010664: 7E084504
	v_rcp_f32_e32 v5, v5                                       // 000000010668: 7E0A4505
	v_rcp_f32_e32 v6, v6                                       // 00000001066C: 7E0C4506
	v_rcp_f32_e32 v7, v7                                       // 000000010670: 7E0E4507
	v_mul_f32_e32 v144, v144, v4                               // 000000010674: 0B200990
	v_mul_f32_e32 v145, v145, v5                               // 000000010678: 0B220B91
	v_mul_f32_e32 v146, v146, v6                               // 00000001067C: 0B240D92
	v_mul_f32_e32 v147, v147, v7                               // 000000010680: 0B260F93
	v_mul_f32_e32 v144, v144, v240                             // 000000010684: 0B21E190
	v_mul_f32_e32 v145, v145, v241                             // 000000010688: 0B23E391
	v_mul_f32_e32 v146, v146, v242                             // 00000001068C: 0B25E592
	v_mul_f32_e32 v147, v147, v243                             // 000000010690: 0B27E793
	v_mul_f32_e64 v4, -v148, s6                                // 000000010694: D1050004 20000D94
	v_mul_f32_e64 v5, -v149, s6                                // 00000001069C: D1050005 20000D95
	v_mul_f32_e64 v6, -v150, s6                                // 0000000106A4: D1050006 20000D96
	v_mul_f32_e64 v7, -v151, s6                                // 0000000106AC: D1050007 20000D97
	v_exp_f32_e32 v4, v4                                       // 0000000106B4: 7E084104
	v_exp_f32_e32 v5, v5                                       // 0000000106B8: 7E0A4105
	v_exp_f32_e32 v6, v6                                       // 0000000106BC: 7E0C4106
	v_exp_f32_e32 v7, v7                                       // 0000000106C0: 7E0E4107
	v_add_f32_e64 v4, v4, 1.0                                  // 0000000106C4: D1010004 0001E504
	v_add_f32_e64 v5, v5, 1.0                                  // 0000000106CC: D1010005 0001E505
	v_add_f32_e64 v6, v6, 1.0                                  // 0000000106D4: D1010006 0001E506
	v_add_f32_e64 v7, v7, 1.0                                  // 0000000106DC: D1010007 0001E507
	v_rcp_f32_e32 v4, v4                                       // 0000000106E4: 7E084504
	v_rcp_f32_e32 v5, v5                                       // 0000000106E8: 7E0A4505
	v_rcp_f32_e32 v6, v6                                       // 0000000106EC: 7E0C4506
	v_rcp_f32_e32 v7, v7                                       // 0000000106F0: 7E0E4507
	v_mul_f32_e32 v148, v148, v4                               // 0000000106F4: 0B280994
	v_mul_f32_e32 v149, v149, v5                               // 0000000106F8: 0B2A0B95
	v_mul_f32_e32 v150, v150, v6                               // 0000000106FC: 0B2C0D96
	v_mul_f32_e32 v151, v151, v7                               // 000000010700: 0B2E0F97
	v_mul_f32_e32 v148, v148, v244                             // 000000010704: 0B29E994
	v_mul_f32_e32 v149, v149, v245                             // 000000010708: 0B2BEB95
	v_mul_f32_e32 v150, v150, v246                             // 00000001070C: 0B2DED96
	v_mul_f32_e32 v151, v151, v247                             // 000000010710: 0B2FEF97
	v_mul_f32_e64 v4, -v152, s6                                // 000000010714: D1050004 20000D98
	v_mul_f32_e64 v5, -v153, s6                                // 00000001071C: D1050005 20000D99
	v_mul_f32_e64 v6, -v154, s6                                // 000000010724: D1050006 20000D9A
	v_mul_f32_e64 v7, -v155, s6                                // 00000001072C: D1050007 20000D9B
	v_exp_f32_e32 v4, v4                                       // 000000010734: 7E084104
	v_exp_f32_e32 v5, v5                                       // 000000010738: 7E0A4105
	v_exp_f32_e32 v6, v6                                       // 00000001073C: 7E0C4106
	v_exp_f32_e32 v7, v7                                       // 000000010740: 7E0E4107
	v_add_f32_e64 v4, v4, 1.0                                  // 000000010744: D1010004 0001E504
	v_add_f32_e64 v5, v5, 1.0                                  // 00000001074C: D1010005 0001E505
	v_add_f32_e64 v6, v6, 1.0                                  // 000000010754: D1010006 0001E506
	v_add_f32_e64 v7, v7, 1.0                                  // 00000001075C: D1010007 0001E507
	v_rcp_f32_e32 v4, v4                                       // 000000010764: 7E084504
	v_rcp_f32_e32 v5, v5                                       // 000000010768: 7E0A4505
	v_rcp_f32_e32 v6, v6                                       // 00000001076C: 7E0C4506
	v_rcp_f32_e32 v7, v7                                       // 000000010770: 7E0E4507
	v_mul_f32_e32 v152, v152, v4                               // 000000010774: 0B300998
	v_mul_f32_e32 v153, v153, v5                               // 000000010778: 0B320B99
	v_mul_f32_e32 v154, v154, v6                               // 00000001077C: 0B340D9A
	v_mul_f32_e32 v155, v155, v7                               // 000000010780: 0B360F9B
	v_mul_f32_e32 v152, v152, v248                             // 000000010784: 0B31F198
	v_mul_f32_e32 v153, v153, v249                             // 000000010788: 0B33F399
	v_mul_f32_e32 v154, v154, v250                             // 00000001078C: 0B35F59A
	v_mul_f32_e32 v155, v155, v251                             // 000000010790: 0B37F79B

0000000000010794 <label_3768>:
	v_cmp_u_f32_e64 s[46:47], v60, v60                         // 000000010794: D048002E 0002793C
	v_add3_u32 v16, v60, v19, 1                                // 00000001079C: D1FF0010 0206273C
	v_cndmask_b32_e64 v4, v16, v18, s[46:47]                   // 0000000107A4: D1000004 00BA2510
	v_cmp_u_f32_e64 s[46:47], v61, v61                         // 0000000107AC: D048002E 00027B3D
	v_add3_u32 v16, v61, v19, 1                                // 0000000107B4: D1FF0010 0206273D
	v_cndmask_b32_e64 v5, v16, v18, s[46:47]                   // 0000000107BC: D1000005 00BA2510
	v_perm_b32 v60, v5, v4, s52                                // 0000000107C4: D1ED003C 00D20905
	v_cmp_u_f32_e64 s[46:47], v62, v62                         // 0000000107CC: D048002E 00027D3E
	v_add3_u32 v16, v62, v19, 1                                // 0000000107D4: D1FF0010 0206273E
	v_cndmask_b32_e64 v4, v16, v18, s[46:47]                   // 0000000107DC: D1000004 00BA2510
	v_cmp_u_f32_e64 s[46:47], v63, v63                         // 0000000107E4: D048002E 00027F3F
	v_add3_u32 v16, v63, v19, 1                                // 0000000107EC: D1FF0010 0206273F
	v_cndmask_b32_e64 v5, v16, v18, s[46:47]                   // 0000000107F4: D1000005 00BA2510
	v_perm_b32 v61, v5, v4, s52                                // 0000000107FC: D1ED003D 00D20905
	v_cmp_u_f32_e64 s[46:47], v64, v64                         // 000000010804: D048002E 00028140
	v_add3_u32 v16, v64, v19, 1                                // 00000001080C: D1FF0010 02062740
	v_cndmask_b32_e64 v4, v16, v18, s[46:47]                   // 000000010814: D1000004 00BA2510
	v_cmp_u_f32_e64 s[46:47], v65, v65                         // 00000001081C: D048002E 00028341
	v_add3_u32 v16, v65, v19, 1                                // 000000010824: D1FF0010 02062741
	v_cndmask_b32_e64 v5, v16, v18, s[46:47]                   // 00000001082C: D1000005 00BA2510
	v_perm_b32 v62, v5, v4, s52                                // 000000010834: D1ED003E 00D20905
	v_cmp_u_f32_e64 s[46:47], v66, v66                         // 00000001083C: D048002E 00028542
	v_add3_u32 v16, v66, v19, 1                                // 000000010844: D1FF0010 02062742
	v_cndmask_b32_e64 v4, v16, v18, s[46:47]                   // 00000001084C: D1000004 00BA2510
	v_cmp_u_f32_e64 s[46:47], v67, v67                         // 000000010854: D048002E 00028743
	v_add3_u32 v16, v67, v19, 1                                // 00000001085C: D1FF0010 02062743
	v_cndmask_b32_e64 v5, v16, v18, s[46:47]                   // 000000010864: D1000005 00BA2510
	v_perm_b32 v63, v5, v4, s52                                // 00000001086C: D1ED003F 00D20905
	v_cmp_u_f32_e64 s[46:47], v68, v68                         // 000000010874: D048002E 00028944
	v_add3_u32 v16, v68, v19, 1                                // 00000001087C: D1FF0010 02062744
	v_cndmask_b32_e64 v4, v16, v18, s[46:47]                   // 000000010884: D1000004 00BA2510
	v_cmp_u_f32_e64 s[46:47], v69, v69                         // 00000001088C: D048002E 00028B45
	v_add3_u32 v16, v69, v19, 1                                // 000000010894: D1FF0010 02062745
	v_cndmask_b32_e64 v5, v16, v18, s[46:47]                   // 00000001089C: D1000005 00BA2510
	v_perm_b32 v64, v5, v4, s52                                // 0000000108A4: D1ED0040 00D20905
	v_cmp_u_f32_e64 s[46:47], v70, v70                         // 0000000108AC: D048002E 00028D46
	v_add3_u32 v16, v70, v19, 1                                // 0000000108B4: D1FF0010 02062746
	v_cndmask_b32_e64 v4, v16, v18, s[46:47]                   // 0000000108BC: D1000004 00BA2510
	v_cmp_u_f32_e64 s[46:47], v71, v71                         // 0000000108C4: D048002E 00028F47
	v_add3_u32 v16, v71, v19, 1                                // 0000000108CC: D1FF0010 02062747
	v_cndmask_b32_e64 v5, v16, v18, s[46:47]                   // 0000000108D4: D1000005 00BA2510
	v_perm_b32 v65, v5, v4, s52                                // 0000000108DC: D1ED0041 00D20905
	v_cmp_u_f32_e64 s[46:47], v72, v72                         // 0000000108E4: D048002E 00029148
	v_add3_u32 v16, v72, v19, 1                                // 0000000108EC: D1FF0010 02062748
	v_cndmask_b32_e64 v4, v16, v18, s[46:47]                   // 0000000108F4: D1000004 00BA2510
	v_cmp_u_f32_e64 s[46:47], v73, v73                         // 0000000108FC: D048002E 00029349
	v_add3_u32 v16, v73, v19, 1                                // 000000010904: D1FF0010 02062749
	v_cndmask_b32_e64 v5, v16, v18, s[46:47]                   // 00000001090C: D1000005 00BA2510
	v_perm_b32 v66, v5, v4, s52                                // 000000010914: D1ED0042 00D20905
	v_cmp_u_f32_e64 s[46:47], v74, v74                         // 00000001091C: D048002E 0002954A
	v_add3_u32 v16, v74, v19, 1                                // 000000010924: D1FF0010 0206274A
	v_cndmask_b32_e64 v4, v16, v18, s[46:47]                   // 00000001092C: D1000004 00BA2510
	v_cmp_u_f32_e64 s[46:47], v75, v75                         // 000000010934: D048002E 0002974B
	v_add3_u32 v16, v75, v19, 1                                // 00000001093C: D1FF0010 0206274B
	v_cndmask_b32_e64 v5, v16, v18, s[46:47]                   // 000000010944: D1000005 00BA2510
	v_perm_b32 v67, v5, v4, s52                                // 00000001094C: D1ED0043 00D20905
	v_cmp_u_f32_e64 s[46:47], v76, v76                         // 000000010954: D048002E 0002994C
	v_add3_u32 v16, v76, v19, 1                                // 00000001095C: D1FF0010 0206274C
	v_cndmask_b32_e64 v4, v16, v18, s[46:47]                   // 000000010964: D1000004 00BA2510
	v_cmp_u_f32_e64 s[46:47], v77, v77                         // 00000001096C: D048002E 00029B4D
	v_add3_u32 v16, v77, v19, 1                                // 000000010974: D1FF0010 0206274D
	v_cndmask_b32_e64 v5, v16, v18, s[46:47]                   // 00000001097C: D1000005 00BA2510
	v_perm_b32 v68, v5, v4, s52                                // 000000010984: D1ED0044 00D20905
	v_cmp_u_f32_e64 s[46:47], v78, v78                         // 00000001098C: D048002E 00029D4E
	v_add3_u32 v16, v78, v19, 1                                // 000000010994: D1FF0010 0206274E
	v_cndmask_b32_e64 v4, v16, v18, s[46:47]                   // 00000001099C: D1000004 00BA2510
	v_cmp_u_f32_e64 s[46:47], v79, v79                         // 0000000109A4: D048002E 00029F4F
	v_add3_u32 v16, v79, v19, 1                                // 0000000109AC: D1FF0010 0206274F
	v_cndmask_b32_e64 v5, v16, v18, s[46:47]                   // 0000000109B4: D1000005 00BA2510
	v_perm_b32 v69, v5, v4, s52                                // 0000000109BC: D1ED0045 00D20905
	v_cmp_u_f32_e64 s[46:47], v80, v80                         // 0000000109C4: D048002E 0002A150
	v_add3_u32 v16, v80, v19, 1                                // 0000000109CC: D1FF0010 02062750
	v_cndmask_b32_e64 v4, v16, v18, s[46:47]                   // 0000000109D4: D1000004 00BA2510
	v_cmp_u_f32_e64 s[46:47], v81, v81                         // 0000000109DC: D048002E 0002A351
	v_add3_u32 v16, v81, v19, 1                                // 0000000109E4: D1FF0010 02062751
	v_cndmask_b32_e64 v5, v16, v18, s[46:47]                   // 0000000109EC: D1000005 00BA2510
	v_perm_b32 v70, v5, v4, s52                                // 0000000109F4: D1ED0046 00D20905
	v_cmp_u_f32_e64 s[46:47], v82, v82                         // 0000000109FC: D048002E 0002A552
	v_add3_u32 v16, v82, v19, 1                                // 000000010A04: D1FF0010 02062752
	v_cndmask_b32_e64 v4, v16, v18, s[46:47]                   // 000000010A0C: D1000004 00BA2510
	v_cmp_u_f32_e64 s[46:47], v83, v83                         // 000000010A14: D048002E 0002A753
	v_add3_u32 v16, v83, v19, 1                                // 000000010A1C: D1FF0010 02062753
	v_cndmask_b32_e64 v5, v16, v18, s[46:47]                   // 000000010A24: D1000005 00BA2510
	v_perm_b32 v71, v5, v4, s52                                // 000000010A2C: D1ED0047 00D20905
	v_cmp_u_f32_e64 s[46:47], v84, v84                         // 000000010A34: D048002E 0002A954
	v_add3_u32 v16, v84, v19, 1                                // 000000010A3C: D1FF0010 02062754
	v_cndmask_b32_e64 v4, v16, v18, s[46:47]                   // 000000010A44: D1000004 00BA2510
	v_cmp_u_f32_e64 s[46:47], v85, v85                         // 000000010A4C: D048002E 0002AB55
	v_add3_u32 v16, v85, v19, 1                                // 000000010A54: D1FF0010 02062755
	v_cndmask_b32_e64 v5, v16, v18, s[46:47]                   // 000000010A5C: D1000005 00BA2510
	v_perm_b32 v72, v5, v4, s52                                // 000000010A64: D1ED0048 00D20905
	v_cmp_u_f32_e64 s[46:47], v86, v86                         // 000000010A6C: D048002E 0002AD56
	v_add3_u32 v16, v86, v19, 1                                // 000000010A74: D1FF0010 02062756
	v_cndmask_b32_e64 v4, v16, v18, s[46:47]                   // 000000010A7C: D1000004 00BA2510
	v_cmp_u_f32_e64 s[46:47], v87, v87                         // 000000010A84: D048002E 0002AF57
	v_add3_u32 v16, v87, v19, 1                                // 000000010A8C: D1FF0010 02062757
	v_cndmask_b32_e64 v5, v16, v18, s[46:47]                   // 000000010A94: D1000005 00BA2510
	v_perm_b32 v73, v5, v4, s52                                // 000000010A9C: D1ED0049 00D20905
	v_cmp_u_f32_e64 s[46:47], v88, v88                         // 000000010AA4: D048002E 0002B158
	v_add3_u32 v16, v88, v19, 1                                // 000000010AAC: D1FF0010 02062758
	v_cndmask_b32_e64 v4, v16, v18, s[46:47]                   // 000000010AB4: D1000004 00BA2510
	v_cmp_u_f32_e64 s[46:47], v89, v89                         // 000000010ABC: D048002E 0002B359
	v_add3_u32 v16, v89, v19, 1                                // 000000010AC4: D1FF0010 02062759
	v_cndmask_b32_e64 v5, v16, v18, s[46:47]                   // 000000010ACC: D1000005 00BA2510
	v_perm_b32 v74, v5, v4, s52                                // 000000010AD4: D1ED004A 00D20905
	v_cmp_u_f32_e64 s[46:47], v90, v90                         // 000000010ADC: D048002E 0002B55A
	v_add3_u32 v16, v90, v19, 1                                // 000000010AE4: D1FF0010 0206275A
	v_cndmask_b32_e64 v4, v16, v18, s[46:47]                   // 000000010AEC: D1000004 00BA2510
	v_cmp_u_f32_e64 s[46:47], v91, v91                         // 000000010AF4: D048002E 0002B75B
	v_add3_u32 v16, v91, v19, 1                                // 000000010AFC: D1FF0010 0206275B
	v_cndmask_b32_e64 v5, v16, v18, s[46:47]                   // 000000010B04: D1000005 00BA2510
	v_perm_b32 v75, v5, v4, s52                                // 000000010B0C: D1ED004B 00D20905
	v_cmp_u_f32_e64 s[46:47], v92, v92                         // 000000010B14: D048002E 0002B95C
	v_add3_u32 v16, v92, v19, 1                                // 000000010B1C: D1FF0010 0206275C
	v_cndmask_b32_e64 v4, v16, v18, s[46:47]                   // 000000010B24: D1000004 00BA2510
	v_cmp_u_f32_e64 s[46:47], v93, v93                         // 000000010B2C: D048002E 0002BB5D
	v_add3_u32 v16, v93, v19, 1                                // 000000010B34: D1FF0010 0206275D
	v_cndmask_b32_e64 v5, v16, v18, s[46:47]                   // 000000010B3C: D1000005 00BA2510
	v_perm_b32 v76, v5, v4, s52                                // 000000010B44: D1ED004C 00D20905
	v_cmp_u_f32_e64 s[46:47], v94, v94                         // 000000010B4C: D048002E 0002BD5E
	v_add3_u32 v16, v94, v19, 1                                // 000000010B54: D1FF0010 0206275E
	v_cndmask_b32_e64 v4, v16, v18, s[46:47]                   // 000000010B5C: D1000004 00BA2510
	v_cmp_u_f32_e64 s[46:47], v95, v95                         // 000000010B64: D048002E 0002BF5F
	v_add3_u32 v16, v95, v19, 1                                // 000000010B6C: D1FF0010 0206275F
	v_cndmask_b32_e64 v5, v16, v18, s[46:47]                   // 000000010B74: D1000005 00BA2510
	v_perm_b32 v77, v5, v4, s52                                // 000000010B7C: D1ED004D 00D20905
	v_cmp_u_f32_e64 s[46:47], v96, v96                         // 000000010B84: D048002E 0002C160
	v_add3_u32 v16, v96, v19, 1                                // 000000010B8C: D1FF0010 02062760
	v_cndmask_b32_e64 v4, v16, v18, s[46:47]                   // 000000010B94: D1000004 00BA2510
	v_cmp_u_f32_e64 s[46:47], v97, v97                         // 000000010B9C: D048002E 0002C361
	v_add3_u32 v16, v97, v19, 1                                // 000000010BA4: D1FF0010 02062761
	v_cndmask_b32_e64 v5, v16, v18, s[46:47]                   // 000000010BAC: D1000005 00BA2510
	v_perm_b32 v78, v5, v4, s52                                // 000000010BB4: D1ED004E 00D20905
	v_cmp_u_f32_e64 s[46:47], v98, v98                         // 000000010BBC: D048002E 0002C562
	v_add3_u32 v16, v98, v19, 1                                // 000000010BC4: D1FF0010 02062762
	v_cndmask_b32_e64 v4, v16, v18, s[46:47]                   // 000000010BCC: D1000004 00BA2510
	v_cmp_u_f32_e64 s[46:47], v99, v99                         // 000000010BD4: D048002E 0002C763
	v_add3_u32 v16, v99, v19, 1                                // 000000010BDC: D1FF0010 02062763
	v_cndmask_b32_e64 v5, v16, v18, s[46:47]                   // 000000010BE4: D1000005 00BA2510
	v_perm_b32 v79, v5, v4, s52                                // 000000010BEC: D1ED004F 00D20905
	v_cmp_u_f32_e64 s[46:47], v100, v100                       // 000000010BF4: D048002E 0002C964
	v_add3_u32 v16, v100, v19, 1                               // 000000010BFC: D1FF0010 02062764
	v_cndmask_b32_e64 v4, v16, v18, s[46:47]                   // 000000010C04: D1000004 00BA2510
	v_cmp_u_f32_e64 s[46:47], v101, v101                       // 000000010C0C: D048002E 0002CB65
	v_add3_u32 v16, v101, v19, 1                               // 000000010C14: D1FF0010 02062765
	v_cndmask_b32_e64 v5, v16, v18, s[46:47]                   // 000000010C1C: D1000005 00BA2510
	v_perm_b32 v80, v5, v4, s52                                // 000000010C24: D1ED0050 00D20905
	v_cmp_u_f32_e64 s[46:47], v102, v102                       // 000000010C2C: D048002E 0002CD66
	v_add3_u32 v16, v102, v19, 1                               // 000000010C34: D1FF0010 02062766
	v_cndmask_b32_e64 v4, v16, v18, s[46:47]                   // 000000010C3C: D1000004 00BA2510
	v_cmp_u_f32_e64 s[46:47], v103, v103                       // 000000010C44: D048002E 0002CF67
	v_add3_u32 v16, v103, v19, 1                               // 000000010C4C: D1FF0010 02062767
	v_cndmask_b32_e64 v5, v16, v18, s[46:47]                   // 000000010C54: D1000005 00BA2510
	v_perm_b32 v81, v5, v4, s52                                // 000000010C5C: D1ED0051 00D20905
	v_cmp_u_f32_e64 s[46:47], v104, v104                       // 000000010C64: D048002E 0002D168
	v_add3_u32 v16, v104, v19, 1                               // 000000010C6C: D1FF0010 02062768
	v_cndmask_b32_e64 v4, v16, v18, s[46:47]                   // 000000010C74: D1000004 00BA2510
	v_cmp_u_f32_e64 s[46:47], v105, v105                       // 000000010C7C: D048002E 0002D369
	v_add3_u32 v16, v105, v19, 1                               // 000000010C84: D1FF0010 02062769
	v_cndmask_b32_e64 v5, v16, v18, s[46:47]                   // 000000010C8C: D1000005 00BA2510
	v_perm_b32 v82, v5, v4, s52                                // 000000010C94: D1ED0052 00D20905
	v_cmp_u_f32_e64 s[46:47], v106, v106                       // 000000010C9C: D048002E 0002D56A
	v_add3_u32 v16, v106, v19, 1                               // 000000010CA4: D1FF0010 0206276A
	v_cndmask_b32_e64 v4, v16, v18, s[46:47]                   // 000000010CAC: D1000004 00BA2510
	v_cmp_u_f32_e64 s[46:47], v107, v107                       // 000000010CB4: D048002E 0002D76B
	v_add3_u32 v16, v107, v19, 1                               // 000000010CBC: D1FF0010 0206276B
	v_cndmask_b32_e64 v5, v16, v18, s[46:47]                   // 000000010CC4: D1000005 00BA2510
	v_perm_b32 v83, v5, v4, s52                                // 000000010CCC: D1ED0053 00D20905
	v_cmp_u_f32_e64 s[46:47], v108, v108                       // 000000010CD4: D048002E 0002D96C
	v_add3_u32 v16, v108, v19, 1                               // 000000010CDC: D1FF0010 0206276C
	v_cndmask_b32_e64 v4, v16, v18, s[46:47]                   // 000000010CE4: D1000004 00BA2510
	v_cmp_u_f32_e64 s[46:47], v109, v109                       // 000000010CEC: D048002E 0002DB6D
	v_add3_u32 v16, v109, v19, 1                               // 000000010CF4: D1FF0010 0206276D
	v_cndmask_b32_e64 v5, v16, v18, s[46:47]                   // 000000010CFC: D1000005 00BA2510
	v_perm_b32 v84, v5, v4, s52                                // 000000010D04: D1ED0054 00D20905
	v_cmp_u_f32_e64 s[46:47], v110, v110                       // 000000010D0C: D048002E 0002DD6E
	v_add3_u32 v16, v110, v19, 1                               // 000000010D14: D1FF0010 0206276E
	v_cndmask_b32_e64 v4, v16, v18, s[46:47]                   // 000000010D1C: D1000004 00BA2510
	v_cmp_u_f32_e64 s[46:47], v111, v111                       // 000000010D24: D048002E 0002DF6F
	v_add3_u32 v16, v111, v19, 1                               // 000000010D2C: D1FF0010 0206276F
	v_cndmask_b32_e64 v5, v16, v18, s[46:47]                   // 000000010D34: D1000005 00BA2510
	v_perm_b32 v85, v5, v4, s52                                // 000000010D3C: D1ED0055 00D20905
	v_cmp_u_f32_e64 s[46:47], v112, v112                       // 000000010D44: D048002E 0002E170
	v_add3_u32 v16, v112, v19, 1                               // 000000010D4C: D1FF0010 02062770
	v_cndmask_b32_e64 v4, v16, v18, s[46:47]                   // 000000010D54: D1000004 00BA2510
	v_cmp_u_f32_e64 s[46:47], v113, v113                       // 000000010D5C: D048002E 0002E371
	v_add3_u32 v16, v113, v19, 1                               // 000000010D64: D1FF0010 02062771
	v_cndmask_b32_e64 v5, v16, v18, s[46:47]                   // 000000010D6C: D1000005 00BA2510
	v_perm_b32 v86, v5, v4, s52                                // 000000010D74: D1ED0056 00D20905
	v_cmp_u_f32_e64 s[46:47], v114, v114                       // 000000010D7C: D048002E 0002E572
	v_add3_u32 v16, v114, v19, 1                               // 000000010D84: D1FF0010 02062772
	v_cndmask_b32_e64 v4, v16, v18, s[46:47]                   // 000000010D8C: D1000004 00BA2510
	v_cmp_u_f32_e64 s[46:47], v115, v115                       // 000000010D94: D048002E 0002E773
	v_add3_u32 v16, v115, v19, 1                               // 000000010D9C: D1FF0010 02062773
	v_cndmask_b32_e64 v5, v16, v18, s[46:47]                   // 000000010DA4: D1000005 00BA2510
	v_perm_b32 v87, v5, v4, s52                                // 000000010DAC: D1ED0057 00D20905
	v_cmp_u_f32_e64 s[46:47], v116, v116                       // 000000010DB4: D048002E 0002E974
	v_add3_u32 v16, v116, v19, 1                               // 000000010DBC: D1FF0010 02062774
	v_cndmask_b32_e64 v4, v16, v18, s[46:47]                   // 000000010DC4: D1000004 00BA2510
	v_cmp_u_f32_e64 s[46:47], v117, v117                       // 000000010DCC: D048002E 0002EB75
	v_add3_u32 v16, v117, v19, 1                               // 000000010DD4: D1FF0010 02062775
	v_cndmask_b32_e64 v5, v16, v18, s[46:47]                   // 000000010DDC: D1000005 00BA2510
	v_perm_b32 v88, v5, v4, s52                                // 000000010DE4: D1ED0058 00D20905
	v_cmp_u_f32_e64 s[46:47], v118, v118                       // 000000010DEC: D048002E 0002ED76
	v_add3_u32 v16, v118, v19, 1                               // 000000010DF4: D1FF0010 02062776
	v_cndmask_b32_e64 v4, v16, v18, s[46:47]                   // 000000010DFC: D1000004 00BA2510
	v_cmp_u_f32_e64 s[46:47], v119, v119                       // 000000010E04: D048002E 0002EF77
	v_add3_u32 v16, v119, v19, 1                               // 000000010E0C: D1FF0010 02062777
	v_cndmask_b32_e64 v5, v16, v18, s[46:47]                   // 000000010E14: D1000005 00BA2510
	v_perm_b32 v89, v5, v4, s52                                // 000000010E1C: D1ED0059 00D20905
	v_cmp_u_f32_e64 s[46:47], v120, v120                       // 000000010E24: D048002E 0002F178
	v_add3_u32 v16, v120, v19, 1                               // 000000010E2C: D1FF0010 02062778
	v_cndmask_b32_e64 v4, v16, v18, s[46:47]                   // 000000010E34: D1000004 00BA2510
	v_cmp_u_f32_e64 s[46:47], v121, v121                       // 000000010E3C: D048002E 0002F379
	v_add3_u32 v16, v121, v19, 1                               // 000000010E44: D1FF0010 02062779
	v_cndmask_b32_e64 v5, v16, v18, s[46:47]                   // 000000010E4C: D1000005 00BA2510
	v_perm_b32 v90, v5, v4, s52                                // 000000010E54: D1ED005A 00D20905
	v_cmp_u_f32_e64 s[46:47], v122, v122                       // 000000010E5C: D048002E 0002F57A
	v_add3_u32 v16, v122, v19, 1                               // 000000010E64: D1FF0010 0206277A
	v_cndmask_b32_e64 v4, v16, v18, s[46:47]                   // 000000010E6C: D1000004 00BA2510
	v_cmp_u_f32_e64 s[46:47], v123, v123                       // 000000010E74: D048002E 0002F77B
	v_add3_u32 v16, v123, v19, 1                               // 000000010E7C: D1FF0010 0206277B
	v_cndmask_b32_e64 v5, v16, v18, s[46:47]                   // 000000010E84: D1000005 00BA2510
	v_perm_b32 v91, v5, v4, s52                                // 000000010E8C: D1ED005B 00D20905
	v_cmp_u_f32_e64 s[46:47], v124, v124                       // 000000010E94: D048002E 0002F97C
	v_add3_u32 v16, v124, v19, 1                               // 000000010E9C: D1FF0010 0206277C
	v_cndmask_b32_e64 v4, v16, v18, s[46:47]                   // 000000010EA4: D1000004 00BA2510
	v_cmp_u_f32_e64 s[46:47], v125, v125                       // 000000010EAC: D048002E 0002FB7D
	v_add3_u32 v16, v125, v19, 1                               // 000000010EB4: D1FF0010 0206277D
	v_cndmask_b32_e64 v5, v16, v18, s[46:47]                   // 000000010EBC: D1000005 00BA2510
	v_perm_b32 v92, v5, v4, s52                                // 000000010EC4: D1ED005C 00D20905
	v_cmp_u_f32_e64 s[46:47], v126, v126                       // 000000010ECC: D048002E 0002FD7E
	v_add3_u32 v16, v126, v19, 1                               // 000000010ED4: D1FF0010 0206277E
	v_cndmask_b32_e64 v4, v16, v18, s[46:47]                   // 000000010EDC: D1000004 00BA2510
	v_cmp_u_f32_e64 s[46:47], v127, v127                       // 000000010EE4: D048002E 0002FF7F
	v_add3_u32 v16, v127, v19, 1                               // 000000010EEC: D1FF0010 0206277F
	v_cndmask_b32_e64 v5, v16, v18, s[46:47]                   // 000000010EF4: D1000005 00BA2510
	v_perm_b32 v93, v5, v4, s52                                // 000000010EFC: D1ED005D 00D20905
	v_cmp_u_f32_e64 s[46:47], v128, v128                       // 000000010F04: D048002E 00030180
	v_add3_u32 v16, v128, v19, 1                               // 000000010F0C: D1FF0010 02062780
	v_cndmask_b32_e64 v4, v16, v18, s[46:47]                   // 000000010F14: D1000004 00BA2510
	v_cmp_u_f32_e64 s[46:47], v129, v129                       // 000000010F1C: D048002E 00030381
	v_add3_u32 v16, v129, v19, 1                               // 000000010F24: D1FF0010 02062781
	v_cndmask_b32_e64 v5, v16, v18, s[46:47]                   // 000000010F2C: D1000005 00BA2510
	v_perm_b32 v94, v5, v4, s52                                // 000000010F34: D1ED005E 00D20905
	v_cmp_u_f32_e64 s[46:47], v130, v130                       // 000000010F3C: D048002E 00030582
	v_add3_u32 v16, v130, v19, 1                               // 000000010F44: D1FF0010 02062782
	v_cndmask_b32_e64 v4, v16, v18, s[46:47]                   // 000000010F4C: D1000004 00BA2510
	v_cmp_u_f32_e64 s[46:47], v131, v131                       // 000000010F54: D048002E 00030783
	v_add3_u32 v16, v131, v19, 1                               // 000000010F5C: D1FF0010 02062783
	v_cndmask_b32_e64 v5, v16, v18, s[46:47]                   // 000000010F64: D1000005 00BA2510
	v_perm_b32 v95, v5, v4, s52                                // 000000010F6C: D1ED005F 00D20905
	v_cmp_u_f32_e64 s[46:47], v132, v132                       // 000000010F74: D048002E 00030984
	v_add3_u32 v16, v132, v19, 1                               // 000000010F7C: D1FF0010 02062784
	v_cndmask_b32_e64 v4, v16, v18, s[46:47]                   // 000000010F84: D1000004 00BA2510
	v_cmp_u_f32_e64 s[46:47], v133, v133                       // 000000010F8C: D048002E 00030B85
	v_add3_u32 v16, v133, v19, 1                               // 000000010F94: D1FF0010 02062785
	v_cndmask_b32_e64 v5, v16, v18, s[46:47]                   // 000000010F9C: D1000005 00BA2510
	v_perm_b32 v96, v5, v4, s52                                // 000000010FA4: D1ED0060 00D20905
	v_cmp_u_f32_e64 s[46:47], v134, v134                       // 000000010FAC: D048002E 00030D86
	v_add3_u32 v16, v134, v19, 1                               // 000000010FB4: D1FF0010 02062786
	v_cndmask_b32_e64 v4, v16, v18, s[46:47]                   // 000000010FBC: D1000004 00BA2510
	v_cmp_u_f32_e64 s[46:47], v135, v135                       // 000000010FC4: D048002E 00030F87
	v_add3_u32 v16, v135, v19, 1                               // 000000010FCC: D1FF0010 02062787
	v_cndmask_b32_e64 v5, v16, v18, s[46:47]                   // 000000010FD4: D1000005 00BA2510
	v_perm_b32 v97, v5, v4, s52                                // 000000010FDC: D1ED0061 00D20905
	v_cmp_u_f32_e64 s[46:47], v136, v136                       // 000000010FE4: D048002E 00031188
	v_add3_u32 v16, v136, v19, 1                               // 000000010FEC: D1FF0010 02062788
	v_cndmask_b32_e64 v4, v16, v18, s[46:47]                   // 000000010FF4: D1000004 00BA2510
	v_cmp_u_f32_e64 s[46:47], v137, v137                       // 000000010FFC: D048002E 00031389
	v_add3_u32 v16, v137, v19, 1                               // 000000011004: D1FF0010 02062789
	v_cndmask_b32_e64 v5, v16, v18, s[46:47]                   // 00000001100C: D1000005 00BA2510
	v_perm_b32 v98, v5, v4, s52                                // 000000011014: D1ED0062 00D20905
	v_cmp_u_f32_e64 s[46:47], v138, v138                       // 00000001101C: D048002E 0003158A
	v_add3_u32 v16, v138, v19, 1                               // 000000011024: D1FF0010 0206278A
	v_cndmask_b32_e64 v4, v16, v18, s[46:47]                   // 00000001102C: D1000004 00BA2510
	v_cmp_u_f32_e64 s[46:47], v139, v139                       // 000000011034: D048002E 0003178B
	v_add3_u32 v16, v139, v19, 1                               // 00000001103C: D1FF0010 0206278B
	v_cndmask_b32_e64 v5, v16, v18, s[46:47]                   // 000000011044: D1000005 00BA2510
	v_perm_b32 v99, v5, v4, s52                                // 00000001104C: D1ED0063 00D20905
	v_cmp_u_f32_e64 s[46:47], v140, v140                       // 000000011054: D048002E 0003198C
	v_add3_u32 v16, v140, v19, 1                               // 00000001105C: D1FF0010 0206278C
	v_cndmask_b32_e64 v4, v16, v18, s[46:47]                   // 000000011064: D1000004 00BA2510
	v_cmp_u_f32_e64 s[46:47], v141, v141                       // 00000001106C: D048002E 00031B8D
	v_add3_u32 v16, v141, v19, 1                               // 000000011074: D1FF0010 0206278D
	v_cndmask_b32_e64 v5, v16, v18, s[46:47]                   // 00000001107C: D1000005 00BA2510
	v_perm_b32 v100, v5, v4, s52                               // 000000011084: D1ED0064 00D20905
	v_cmp_u_f32_e64 s[46:47], v142, v142                       // 00000001108C: D048002E 00031D8E
	v_add3_u32 v16, v142, v19, 1                               // 000000011094: D1FF0010 0206278E
	v_cndmask_b32_e64 v4, v16, v18, s[46:47]                   // 00000001109C: D1000004 00BA2510
	v_cmp_u_f32_e64 s[46:47], v143, v143                       // 0000000110A4: D048002E 00031F8F
	v_add3_u32 v16, v143, v19, 1                               // 0000000110AC: D1FF0010 0206278F
	v_cndmask_b32_e64 v5, v16, v18, s[46:47]                   // 0000000110B4: D1000005 00BA2510
	v_perm_b32 v101, v5, v4, s52                               // 0000000110BC: D1ED0065 00D20905
	v_cmp_u_f32_e64 s[46:47], v144, v144                       // 0000000110C4: D048002E 00032190
	v_add3_u32 v16, v144, v19, 1                               // 0000000110CC: D1FF0010 02062790
	v_cndmask_b32_e64 v4, v16, v18, s[46:47]                   // 0000000110D4: D1000004 00BA2510
	v_cmp_u_f32_e64 s[46:47], v145, v145                       // 0000000110DC: D048002E 00032391
	v_add3_u32 v16, v145, v19, 1                               // 0000000110E4: D1FF0010 02062791
	v_cndmask_b32_e64 v5, v16, v18, s[46:47]                   // 0000000110EC: D1000005 00BA2510
	v_perm_b32 v102, v5, v4, s52                               // 0000000110F4: D1ED0066 00D20905
	v_cmp_u_f32_e64 s[46:47], v146, v146                       // 0000000110FC: D048002E 00032592
	v_add3_u32 v16, v146, v19, 1                               // 000000011104: D1FF0010 02062792
	v_cndmask_b32_e64 v4, v16, v18, s[46:47]                   // 00000001110C: D1000004 00BA2510
	v_cmp_u_f32_e64 s[46:47], v147, v147                       // 000000011114: D048002E 00032793
	v_add3_u32 v16, v147, v19, 1                               // 00000001111C: D1FF0010 02062793
	v_cndmask_b32_e64 v5, v16, v18, s[46:47]                   // 000000011124: D1000005 00BA2510
	v_perm_b32 v103, v5, v4, s52                               // 00000001112C: D1ED0067 00D20905
	v_cmp_u_f32_e64 s[46:47], v148, v148                       // 000000011134: D048002E 00032994
	v_add3_u32 v16, v148, v19, 1                               // 00000001113C: D1FF0010 02062794
	v_cndmask_b32_e64 v4, v16, v18, s[46:47]                   // 000000011144: D1000004 00BA2510
	v_cmp_u_f32_e64 s[46:47], v149, v149                       // 00000001114C: D048002E 00032B95
	v_add3_u32 v16, v149, v19, 1                               // 000000011154: D1FF0010 02062795
	v_cndmask_b32_e64 v5, v16, v18, s[46:47]                   // 00000001115C: D1000005 00BA2510
	v_perm_b32 v104, v5, v4, s52                               // 000000011164: D1ED0068 00D20905
	v_cmp_u_f32_e64 s[46:47], v150, v150                       // 00000001116C: D048002E 00032D96
	v_add3_u32 v16, v150, v19, 1                               // 000000011174: D1FF0010 02062796
	v_cndmask_b32_e64 v4, v16, v18, s[46:47]                   // 00000001117C: D1000004 00BA2510
	v_cmp_u_f32_e64 s[46:47], v151, v151                       // 000000011184: D048002E 00032F97
	v_add3_u32 v16, v151, v19, 1                               // 00000001118C: D1FF0010 02062797
	v_cndmask_b32_e64 v5, v16, v18, s[46:47]                   // 000000011194: D1000005 00BA2510
	v_perm_b32 v105, v5, v4, s52                               // 00000001119C: D1ED0069 00D20905
	v_cmp_u_f32_e64 s[46:47], v152, v152                       // 0000000111A4: D048002E 00033198
	v_add3_u32 v16, v152, v19, 1                               // 0000000111AC: D1FF0010 02062798
	v_cndmask_b32_e64 v4, v16, v18, s[46:47]                   // 0000000111B4: D1000004 00BA2510
	v_cmp_u_f32_e64 s[46:47], v153, v153                       // 0000000111BC: D048002E 00033399
	v_add3_u32 v16, v153, v19, 1                               // 0000000111C4: D1FF0010 02062799
	v_cndmask_b32_e64 v5, v16, v18, s[46:47]                   // 0000000111CC: D1000005 00BA2510
	v_perm_b32 v106, v5, v4, s52                               // 0000000111D4: D1ED006A 00D20905
	v_cmp_u_f32_e64 s[46:47], v154, v154                       // 0000000111DC: D048002E 0003359A
	v_add3_u32 v16, v154, v19, 1                               // 0000000111E4: D1FF0010 0206279A
	v_cndmask_b32_e64 v4, v16, v18, s[46:47]                   // 0000000111EC: D1000004 00BA2510
	v_cmp_u_f32_e64 s[46:47], v155, v155                       // 0000000111F4: D048002E 0003379B
	v_add3_u32 v16, v155, v19, 1                               // 0000000111FC: D1FF0010 0206279B
	v_cndmask_b32_e64 v5, v16, v18, s[46:47]                   // 000000011204: D1000005 00BA2510
	v_perm_b32 v107, v5, v4, s52                               // 00000001120C: D1ED006B 00D20905
	ds_write_b64 v20, v[60:61]                                 // 000000011214: D89A0000 00003C14
	ds_write_b64 v20, v[62:63] offset:17408                    // 00000001121C: D89A4400 00003E14
	ds_write_b64 v20, v[64:65] offset:34816                    // 000000011224: D89A8800 00004014
	ds_write_b64 v20, v[66:67] offset:2176                     // 00000001122C: D89A0880 00004214
	ds_write_b64 v20, v[68:69] offset:19584                    // 000000011234: D89A4C80 00004414
	ds_write_b64 v20, v[70:71] offset:36992                    // 00000001123C: D89A9080 00004614
	ds_write_b64 v20, v[72:73] offset:4352                     // 000000011244: D89A1100 00004814
	ds_write_b64 v20, v[74:75] offset:21760                    // 00000001124C: D89A5500 00004A14
	ds_write_b64 v20, v[76:77] offset:39168                    // 000000011254: D89A9900 00004C14
	ds_write_b64 v20, v[78:79] offset:6528                     // 00000001125C: D89A1980 00004E14
	ds_write_b64 v20, v[80:81] offset:23936                    // 000000011264: D89A5D80 00005014
	ds_write_b64 v20, v[82:83] offset:41344                    // 00000001126C: D89AA180 00005214
	ds_write_b64 v20, v[84:85] offset:8704                     // 000000011274: D89A2200 00005414
	ds_write_b64 v20, v[86:87] offset:26112                    // 00000001127C: D89A6600 00005614
	ds_write_b64 v20, v[88:89] offset:43520                    // 000000011284: D89AAA00 00005814
	ds_write_b64 v20, v[90:91] offset:10880                    // 00000001128C: D89A2A80 00005A14
	ds_write_b64 v20, v[92:93] offset:28288                    // 000000011294: D89A6E80 00005C14
	ds_write_b64 v20, v[94:95] offset:45696                    // 00000001129C: D89AB280 00005E14
	ds_write_b64 v20, v[96:97] offset:13056                    // 0000000112A4: D89A3300 00006014
	ds_write_b64 v20, v[98:99] offset:30464                    // 0000000112AC: D89A7700 00006214
	ds_write_b64 v20, v[100:101] offset:47872                  // 0000000112B4: D89ABB00 00006414
	ds_write_b64 v20, v[102:103] offset:15232                  // 0000000112BC: D89A3B80 00006614
	ds_write_b64 v20, v[104:105] offset:32640                  // 0000000112C4: D89A7F80 00006814
	ds_write_b64 v20, v[106:107] offset:50048                  // 0000000112CC: D89AC380 00006A14
	v_lshrrev_b32_e32 v4, 5, v0                                // 0000000112D4: 20080085
	v_xor_b32_e32 v5, 1, v4                                    // 0000000112D8: 2A0A0881
	s_mul_i32 s60, s65, 2                                      // 0000000112DC: 923C8241
	s_cmp_eq_u32 s88, 0                                        // 0000000112E0: BF068058
	s_cselect_b32 s61, 1, 4                                    // 0000000112E4: 853D8481
	s_mul_i32 s60, s61, s60                                    // 0000000112E8: 923C3C3D
	v_readlane_b32 s82, v3, 0                                  // 0000000112EC: D2890052 00010103
	s_lshr_b32 s61, s82, 24                                    // 0000000112F4: 8F3D9852
	s_and_b32 s82, s82, 0xffffff                               // 0000000112F8: 8652FF52 00FFFFFF
	s_mul_i32 s82, s82, s71                                    // 000000011300: 92524752
	s_mul_i32 s61, s60, s61                                    // 000000011304: 923D3D3C
	s_add_u32 s82, s82, s61                                    // 000000011308: 80523D52
	v_mul_lo_u32 v6, v5, s82                                   // 00000001130C: D2850006 0000A505
	v_readlane_b32 s82, v3, 1                                  // 000000011314: D2890052 00010303
	s_lshr_b32 s61, s82, 24                                    // 00000001131C: 8F3D9852
	s_and_b32 s82, s82, 0xffffff                               // 000000011320: 8652FF52 00FFFFFF
	s_mul_i32 s82, s82, s71                                    // 000000011328: 92524752
	s_mul_i32 s61, s60, s61                                    // 00000001132C: 923D3D3C
	s_add_u32 s82, s82, s61                                    // 000000011330: 80523D52
	v_mul_lo_u32 v7, v4, s82                                   // 000000011334: D2850007 0000A504
	v_add_u32_e32 v43, v6, v7                                  // 00000001133C: 68560F06
	v_readlane_b32 s82, v3, 2                                  // 000000011340: D2890052 00010503
	s_lshr_b32 s61, s82, 24                                    // 000000011348: 8F3D9852
	s_and_b32 s82, s82, 0xffffff                               // 00000001134C: 8652FF52 00FFFFFF
	s_mul_i32 s82, s82, s71                                    // 000000011354: 92524752
	s_mul_i32 s61, s60, s61                                    // 000000011358: 923D3D3C
	s_add_u32 s82, s82, s61                                    // 00000001135C: 80523D52
	v_mul_lo_u32 v6, v5, s82                                   // 000000011360: D2850006 0000A505
	v_readlane_b32 s82, v3, 3                                  // 000000011368: D2890052 00010703
	s_lshr_b32 s61, s82, 24                                    // 000000011370: 8F3D9852
	s_and_b32 s82, s82, 0xffffff                               // 000000011374: 8652FF52 00FFFFFF
	s_mul_i32 s82, s82, s71                                    // 00000001137C: 92524752
	s_mul_i32 s61, s60, s61                                    // 000000011380: 923D3D3C
	s_add_u32 s82, s82, s61                                    // 000000011384: 80523D52
	v_mul_lo_u32 v7, v4, s82                                   // 000000011388: D2850007 0000A504
	v_add_u32_e32 v44, v6, v7                                  // 000000011390: 68580F06
	v_readlane_b32 s82, v3, 4                                  // 000000011394: D2890052 00010903
	s_lshr_b32 s61, s82, 24                                    // 00000001139C: 8F3D9852
	s_and_b32 s82, s82, 0xffffff                               // 0000000113A0: 8652FF52 00FFFFFF
	s_mul_i32 s82, s82, s71                                    // 0000000113A8: 92524752
	s_mul_i32 s61, s60, s61                                    // 0000000113AC: 923D3D3C
	s_add_u32 s82, s82, s61                                    // 0000000113B0: 80523D52
	v_mul_lo_u32 v6, v5, s82                                   // 0000000113B4: D2850006 0000A505
	v_readlane_b32 s82, v3, 5                                  // 0000000113BC: D2890052 00010B03
	s_lshr_b32 s61, s82, 24                                    // 0000000113C4: 8F3D9852
	s_and_b32 s82, s82, 0xffffff                               // 0000000113C8: 8652FF52 00FFFFFF
	s_mul_i32 s82, s82, s71                                    // 0000000113D0: 92524752
	s_mul_i32 s61, s60, s61                                    // 0000000113D4: 923D3D3C
	s_add_u32 s82, s82, s61                                    // 0000000113D8: 80523D52
	v_mul_lo_u32 v7, v4, s82                                   // 0000000113DC: D2850007 0000A504
	v_add_u32_e32 v45, v6, v7                                  // 0000000113E4: 685A0F06
	v_readlane_b32 s82, v3, 6                                  // 0000000113E8: D2890052 00010D03
	s_lshr_b32 s61, s82, 24                                    // 0000000113F0: 8F3D9852
	s_and_b32 s82, s82, 0xffffff                               // 0000000113F4: 8652FF52 00FFFFFF
	s_mul_i32 s82, s82, s71                                    // 0000000113FC: 92524752
	s_mul_i32 s61, s60, s61                                    // 000000011400: 923D3D3C
	s_add_u32 s82, s82, s61                                    // 000000011404: 80523D52
	v_mul_lo_u32 v6, v5, s82                                   // 000000011408: D2850006 0000A505
	v_readlane_b32 s82, v3, 7                                  // 000000011410: D2890052 00010F03
	s_lshr_b32 s61, s82, 24                                    // 000000011418: 8F3D9852
	s_and_b32 s82, s82, 0xffffff                               // 00000001141C: 8652FF52 00FFFFFF
	s_mul_i32 s82, s82, s71                                    // 000000011424: 92524752
	s_mul_i32 s61, s60, s61                                    // 000000011428: 923D3D3C
	s_add_u32 s82, s82, s61                                    // 00000001142C: 80523D52
	v_mul_lo_u32 v7, v4, s82                                   // 000000011430: D2850007 0000A504
	v_add_u32_e32 v46, v6, v7                                  // 000000011438: 685C0F06
	v_readlane_b32 s82, v3, 8                                  // 00000001143C: D2890052 00011103
	s_lshr_b32 s61, s82, 24                                    // 000000011444: 8F3D9852
	s_and_b32 s82, s82, 0xffffff                               // 000000011448: 8652FF52 00FFFFFF
	s_mul_i32 s82, s82, s71                                    // 000000011450: 92524752
	s_mul_i32 s61, s60, s61                                    // 000000011454: 923D3D3C
	s_add_u32 s82, s82, s61                                    // 000000011458: 80523D52
	v_mul_lo_u32 v6, v5, s82                                   // 00000001145C: D2850006 0000A505
	v_readlane_b32 s82, v3, 9                                  // 000000011464: D2890052 00011303
	s_lshr_b32 s61, s82, 24                                    // 00000001146C: 8F3D9852
	s_and_b32 s82, s82, 0xffffff                               // 000000011470: 8652FF52 00FFFFFF
	s_mul_i32 s82, s82, s71                                    // 000000011478: 92524752
	s_mul_i32 s61, s60, s61                                    // 00000001147C: 923D3D3C
	s_add_u32 s82, s82, s61                                    // 000000011480: 80523D52
	v_mul_lo_u32 v7, v4, s82                                   // 000000011484: D2850007 0000A504
	v_add_u32_e32 v47, v6, v7                                  // 00000001148C: 685E0F06
	v_readlane_b32 s82, v3, 10                                 // 000000011490: D2890052 00011503
	s_lshr_b32 s61, s82, 24                                    // 000000011498: 8F3D9852
	s_and_b32 s82, s82, 0xffffff                               // 00000001149C: 8652FF52 00FFFFFF
	s_mul_i32 s82, s82, s71                                    // 0000000114A4: 92524752
	s_mul_i32 s61, s60, s61                                    // 0000000114A8: 923D3D3C
	s_add_u32 s82, s82, s61                                    // 0000000114AC: 80523D52
	v_mul_lo_u32 v6, v5, s82                                   // 0000000114B0: D2850006 0000A505
	v_readlane_b32 s82, v3, 11                                 // 0000000114B8: D2890052 00011703
	s_lshr_b32 s61, s82, 24                                    // 0000000114C0: 8F3D9852
	s_and_b32 s82, s82, 0xffffff                               // 0000000114C4: 8652FF52 00FFFFFF
	s_mul_i32 s82, s82, s71                                    // 0000000114CC: 92524752
	s_mul_i32 s61, s60, s61                                    // 0000000114D0: 923D3D3C
	s_add_u32 s82, s82, s61                                    // 0000000114D4: 80523D52
	v_mul_lo_u32 v7, v4, s82                                   // 0000000114D8: D2850007 0000A504
	v_add_u32_e32 v48, v6, v7                                  // 0000000114E0: 68600F06
	v_and_b32_e32 v4, 31, v0                                   // 0000000114E4: 2608009F
	v_lshrrev_b32_e32 v4, 1, v4                                // 0000000114E8: 20080881
	s_cmp_eq_u32 s88, 0                                        // 0000000114EC: BF068058
	s_cselect_b32 s61, 2, 4                                    // 0000000114F0: 853D8482
	v_mul_lo_u32 v4, v4, s61                                   // 0000000114F4: D2850004 00007B04
	v_and_b32_e64 v5, v0, 1                                    // 0000000114FC: D1130005 00010300
	v_add_u32_e32 v4, v4, v5                                   // 000000011504: 68080B04
	v_lshlrev_b32_e32 v4, 2, v4                                // 000000011508: 24080882
	v_add_u32_e32 v43, v43, v4                                 // 00000001150C: 6856092B
	v_add_u32_e32 v44, v44, v4                                 // 000000011510: 6858092C
	v_add_u32_e32 v45, v45, v4                                 // 000000011514: 685A092D
	v_add_u32_e32 v46, v46, v4                                 // 000000011518: 685C092E
	v_add_u32_e32 v47, v47, v4                                 // 00000001151C: 685E092F
	v_add_u32_e32 v48, v48, v4                                 // 000000011520: 68600930
	s_waitcnt lgkmcnt(0)                                       // 000000011524: BF8CC07F
	s_barrier                                                  // 000000011528: BF8A0000
	ds_read_b32 v60, v21                                       // 00000001152C: D86C0000 3C000015
	ds_read_b32 v61, v21 offset:64                             // 000000011534: D86C0040 3D000015
	ds_read_b32 v62, v21 offset:2176                           // 00000001153C: D86C0880 3E000015
	ds_read_b32 v63, v21 offset:2240                           // 000000011544: D86C08C0 3F000015
	ds_read_b32 v64, v21 offset:4352                           // 00000001154C: D86C1100 40000015
	ds_read_b32 v65, v21 offset:4416                           // 000000011554: D86C1140 41000015
	ds_read_b32 v66, v21 offset:6528                           // 00000001155C: D86C1980 42000015
	ds_read_b32 v67, v21 offset:6592                           // 000000011564: D86C19C0 43000015
	ds_read_b32 v68, v21 offset:8704                           // 00000001156C: D86C2200 44000015
	ds_read_b32 v69, v21 offset:8768                           // 000000011574: D86C2240 45000015
	ds_read_b32 v70, v21 offset:10880                          // 00000001157C: D86C2A80 46000015
	ds_read_b32 v71, v21 offset:10944                          // 000000011584: D86C2AC0 47000015
	ds_read_b32 v72, v21 offset:13056                          // 00000001158C: D86C3300 48000015
	ds_read_b32 v73, v21 offset:13120                          // 000000011594: D86C3340 49000015
	ds_read_b32 v74, v21 offset:15232                          // 00000001159C: D86C3B80 4A000015
	ds_read_b32 v75, v21 offset:15296                          // 0000000115A4: D86C3BC0 4B000015
	ds_read_b32 v76, v21 offset:17408                          // 0000000115AC: D86C4400 4C000015
	ds_read_b32 v77, v21 offset:17472                          // 0000000115B4: D86C4440 4D000015
	ds_read_b32 v78, v21 offset:19584                          // 0000000115BC: D86C4C80 4E000015
	ds_read_b32 v79, v21 offset:19648                          // 0000000115C4: D86C4CC0 4F000015
	ds_read_b32 v80, v21 offset:21760                          // 0000000115CC: D86C5500 50000015
	ds_read_b32 v81, v21 offset:21824                          // 0000000115D4: D86C5540 51000015
	ds_read_b32 v82, v21 offset:23936                          // 0000000115DC: D86C5D80 52000015
	ds_read_b32 v83, v21 offset:24000                          // 0000000115E4: D86C5DC0 53000015
	ds_read_b32 v84, v21 offset:26112                          // 0000000115EC: D86C6600 54000015
	ds_read_b32 v85, v21 offset:26176                          // 0000000115F4: D86C6640 55000015
	ds_read_b32 v86, v21 offset:28288                          // 0000000115FC: D86C6E80 56000015
	ds_read_b32 v87, v21 offset:28352                          // 000000011604: D86C6EC0 57000015
	ds_read_b32 v88, v21 offset:30464                          // 00000001160C: D86C7700 58000015
	ds_read_b32 v89, v21 offset:30528                          // 000000011614: D86C7740 59000015
	ds_read_b32 v90, v21 offset:32640                          // 00000001161C: D86C7F80 5A000015
	ds_read_b32 v91, v21 offset:32704                          // 000000011624: D86C7FC0 5B000015
	ds_read_b32 v92, v21 offset:34816                          // 00000001162C: D86C8800 5C000015
	ds_read_b32 v93, v21 offset:34880                          // 000000011634: D86C8840 5D000015
	ds_read_b32 v94, v21 offset:36992                          // 00000001163C: D86C9080 5E000015
	ds_read_b32 v95, v21 offset:37056                          // 000000011644: D86C90C0 5F000015
	ds_read_b32 v96, v21 offset:39168                          // 00000001164C: D86C9900 60000015
	ds_read_b32 v97, v21 offset:39232                          // 000000011654: D86C9940 61000015
	ds_read_b32 v98, v21 offset:41344                          // 00000001165C: D86CA180 62000015
	ds_read_b32 v99, v21 offset:41408                          // 000000011664: D86CA1C0 63000015
	ds_read_b32 v100, v21 offset:43520                         // 00000001166C: D86CAA00 64000015
	ds_read_b32 v101, v21 offset:43584                         // 000000011674: D86CAA40 65000015
	ds_read_b32 v102, v21 offset:45696                         // 00000001167C: D86CB280 66000015
	ds_read_b32 v103, v21 offset:45760                         // 000000011684: D86CB2C0 67000015
	ds_read_b32 v104, v21 offset:47872                         // 00000001168C: D86CBB00 68000015
	ds_read_b32 v105, v21 offset:47936                         // 000000011694: D86CBB40 69000015
	ds_read_b32 v106, v21 offset:50048                         // 00000001169C: D86CC380 6A000015
	ds_read_b32 v107, v21 offset:50112                         // 0000000116A4: D86CC3C0 6B000015
	s_waitcnt lgkmcnt(0)                                       // 0000000116AC: BF8CC07F
	s_mov_b32 s36, -1                                          // 0000000116B0: BEA400C1
	s_mov_b32 s37, -1                                          // 0000000116B4: BEA500C1
	v_mov_b32_e32 v7, 0                                        // 0000000116B8: 7E0E0280
	s_or_b32 s9, s9, 0x40000                                   // 0000000116BC: 8709FF09 00040000
	s_mov_b64 exec, s[36:37]                                   // 0000000116C4: BEFE0124
	v_mov_b32_e32 v6, v43                                      // 0000000116C8: 7E0C032B
	s_mov_b64 s[60:61], 0                                      // 0000000116CC: BEBC0180
	v_readlane_b32 s82, v3, 0                                  // 0000000116D0: D2890052 00010103
	s_and_b32 s82, s82, 0xffffff                               // 0000000116D8: 8652FF52 00FFFFFF
	s_cmp_lt_u32 s82, s66                                      // 0000000116E0: BF0A4252
	s_cselect_b32 s20, s36, s60                                // 0000000116E4: 85143C24
	v_readlane_b32 s82, v3, 1                                  // 0000000116E8: D2890052 00010303
	s_and_b32 s82, s82, 0xffffff                               // 0000000116F0: 8652FF52 00FFFFFF
	s_cmp_lt_u32 s82, s66                                      // 0000000116F8: BF0A4252
	s_cselect_b32 s21, s36, s60                                // 0000000116FC: 85153C24
	s_mov_b64 exec, s[20:21]                                   // 000000011700: BEFE0114
	buffer_store_dword v60, v6, s[8:11], 0 offen               // 000000011704: E0701000 80023C06
	buffer_store_dword v62, v6, s[8:11], 0 offen offset:128    // 00000001170C: E0701080 80023E06
	buffer_store_dword v64, v6, s[8:11], 0 offen offset:256    // 000000011714: E0701100 80024006
	buffer_store_dword v66, v6, s[8:11], 0 offen offset:384    // 00000001171C: E0701180 80024206
	buffer_store_dword v68, v6, s[8:11], 0 offen offset:512    // 000000011724: E0701200 80024406
	buffer_store_dword v70, v6, s[8:11], 0 offen offset:640    // 00000001172C: E0701280 80024606
	buffer_store_dword v72, v6, s[8:11], 0 offen offset:768    // 000000011734: E0701300 80024806
	buffer_store_dword v74, v6, s[8:11], 0 offen offset:896    // 00000001173C: E0701380 80024A06
	s_mov_b64 exec, s[36:37]                                   // 000000011744: BEFE0124
	v_mov_b32_e32 v6, v44                                      // 000000011748: 7E0C032C
	s_mov_b64 s[60:61], 0                                      // 00000001174C: BEBC0180
	v_readlane_b32 s82, v3, 2                                  // 000000011750: D2890052 00010503
	s_and_b32 s82, s82, 0xffffff                               // 000000011758: 8652FF52 00FFFFFF
	s_cmp_lt_u32 s82, s66                                      // 000000011760: BF0A4252
	s_cselect_b32 s20, s36, s60                                // 000000011764: 85143C24
	v_readlane_b32 s82, v3, 3                                  // 000000011768: D2890052 00010703
	s_and_b32 s82, s82, 0xffffff                               // 000000011770: 8652FF52 00FFFFFF
	s_cmp_lt_u32 s82, s66                                      // 000000011778: BF0A4252
	s_cselect_b32 s21, s36, s60                                // 00000001177C: 85153C24
	s_mov_b64 exec, s[20:21]                                   // 000000011780: BEFE0114
	buffer_store_dword v61, v6, s[8:11], 0 offen               // 000000011784: E0701000 80023D06
	buffer_store_dword v63, v6, s[8:11], 0 offen offset:128    // 00000001178C: E0701080 80023F06
	buffer_store_dword v65, v6, s[8:11], 0 offen offset:256    // 000000011794: E0701100 80024106
	buffer_store_dword v67, v6, s[8:11], 0 offen offset:384    // 00000001179C: E0701180 80024306
	buffer_store_dword v69, v6, s[8:11], 0 offen offset:512    // 0000000117A4: E0701200 80024506
	buffer_store_dword v71, v6, s[8:11], 0 offen offset:640    // 0000000117AC: E0701280 80024706
	buffer_store_dword v73, v6, s[8:11], 0 offen offset:768    // 0000000117B4: E0701300 80024906
	buffer_store_dword v75, v6, s[8:11], 0 offen offset:896    // 0000000117BC: E0701380 80024B06
	s_mov_b64 exec, s[36:37]                                   // 0000000117C4: BEFE0124
	v_mov_b32_e32 v6, v45                                      // 0000000117C8: 7E0C032D
	s_mov_b64 s[60:61], 0                                      // 0000000117CC: BEBC0180
	v_readlane_b32 s82, v3, 4                                  // 0000000117D0: D2890052 00010903
	s_and_b32 s82, s82, 0xffffff                               // 0000000117D8: 8652FF52 00FFFFFF
	s_cmp_lt_u32 s82, s66                                      // 0000000117E0: BF0A4252
	s_cselect_b32 s20, s36, s60                                // 0000000117E4: 85143C24
	v_readlane_b32 s82, v3, 5                                  // 0000000117E8: D2890052 00010B03
	s_and_b32 s82, s82, 0xffffff                               // 0000000117F0: 8652FF52 00FFFFFF
	s_cmp_lt_u32 s82, s66                                      // 0000000117F8: BF0A4252
	s_cselect_b32 s21, s36, s60                                // 0000000117FC: 85153C24
	s_mov_b64 exec, s[20:21]                                   // 000000011800: BEFE0114
	buffer_store_dword v76, v6, s[8:11], 0 offen               // 000000011804: E0701000 80024C06
	buffer_store_dword v78, v6, s[8:11], 0 offen offset:128    // 00000001180C: E0701080 80024E06
	buffer_store_dword v80, v6, s[8:11], 0 offen offset:256    // 000000011814: E0701100 80025006
	buffer_store_dword v82, v6, s[8:11], 0 offen offset:384    // 00000001181C: E0701180 80025206
	buffer_store_dword v84, v6, s[8:11], 0 offen offset:512    // 000000011824: E0701200 80025406
	buffer_store_dword v86, v6, s[8:11], 0 offen offset:640    // 00000001182C: E0701280 80025606
	buffer_store_dword v88, v6, s[8:11], 0 offen offset:768    // 000000011834: E0701300 80025806
	buffer_store_dword v90, v6, s[8:11], 0 offen offset:896    // 00000001183C: E0701380 80025A06
	s_mov_b64 exec, s[36:37]                                   // 000000011844: BEFE0124
	v_mov_b32_e32 v6, v46                                      // 000000011848: 7E0C032E
	s_mov_b64 s[60:61], 0                                      // 00000001184C: BEBC0180
	v_readlane_b32 s82, v3, 6                                  // 000000011850: D2890052 00010D03
	s_and_b32 s82, s82, 0xffffff                               // 000000011858: 8652FF52 00FFFFFF
	s_cmp_lt_u32 s82, s66                                      // 000000011860: BF0A4252
	s_cselect_b32 s20, s36, s60                                // 000000011864: 85143C24
	v_readlane_b32 s82, v3, 7                                  // 000000011868: D2890052 00010F03
	s_and_b32 s82, s82, 0xffffff                               // 000000011870: 8652FF52 00FFFFFF
	s_cmp_lt_u32 s82, s66                                      // 000000011878: BF0A4252
	s_cselect_b32 s21, s36, s60                                // 00000001187C: 85153C24
	s_mov_b64 exec, s[20:21]                                   // 000000011880: BEFE0114
	buffer_store_dword v77, v6, s[8:11], 0 offen               // 000000011884: E0701000 80024D06
	buffer_store_dword v79, v6, s[8:11], 0 offen offset:128    // 00000001188C: E0701080 80024F06
	buffer_store_dword v81, v6, s[8:11], 0 offen offset:256    // 000000011894: E0701100 80025106
	buffer_store_dword v83, v6, s[8:11], 0 offen offset:384    // 00000001189C: E0701180 80025306
	buffer_store_dword v85, v6, s[8:11], 0 offen offset:512    // 0000000118A4: E0701200 80025506
	buffer_store_dword v87, v6, s[8:11], 0 offen offset:640    // 0000000118AC: E0701280 80025706
	buffer_store_dword v89, v6, s[8:11], 0 offen offset:768    // 0000000118B4: E0701300 80025906
	buffer_store_dword v91, v6, s[8:11], 0 offen offset:896    // 0000000118BC: E0701380 80025B06
	s_mov_b64 exec, s[36:37]                                   // 0000000118C4: BEFE0124
	v_mov_b32_e32 v6, v47                                      // 0000000118C8: 7E0C032F
	s_mov_b64 s[60:61], 0                                      // 0000000118CC: BEBC0180
	v_readlane_b32 s82, v3, 8                                  // 0000000118D0: D2890052 00011103
	s_and_b32 s82, s82, 0xffffff                               // 0000000118D8: 8652FF52 00FFFFFF
	s_cmp_lt_u32 s82, s66                                      // 0000000118E0: BF0A4252
	s_cselect_b32 s20, s36, s60                                // 0000000118E4: 85143C24
	v_readlane_b32 s82, v3, 9                                  // 0000000118E8: D2890052 00011303
	s_and_b32 s82, s82, 0xffffff                               // 0000000118F0: 8652FF52 00FFFFFF
	s_cmp_lt_u32 s82, s66                                      // 0000000118F8: BF0A4252
	s_cselect_b32 s21, s36, s60                                // 0000000118FC: 85153C24
	s_mov_b64 exec, s[20:21]                                   // 000000011900: BEFE0114
	buffer_store_dword v92, v6, s[8:11], 0 offen               // 000000011904: E0701000 80025C06
	buffer_store_dword v94, v6, s[8:11], 0 offen offset:128    // 00000001190C: E0701080 80025E06
	buffer_store_dword v96, v6, s[8:11], 0 offen offset:256    // 000000011914: E0701100 80026006
	buffer_store_dword v98, v6, s[8:11], 0 offen offset:384    // 00000001191C: E0701180 80026206
	buffer_store_dword v100, v6, s[8:11], 0 offen offset:512   // 000000011924: E0701200 80026406
	buffer_store_dword v102, v6, s[8:11], 0 offen offset:640   // 00000001192C: E0701280 80026606
	buffer_store_dword v104, v6, s[8:11], 0 offen offset:768   // 000000011934: E0701300 80026806
	buffer_store_dword v106, v6, s[8:11], 0 offen offset:896   // 00000001193C: E0701380 80026A06
	s_mov_b64 exec, s[36:37]                                   // 000000011944: BEFE0124
	v_mov_b32_e32 v6, v48                                      // 000000011948: 7E0C0330
	s_mov_b64 s[60:61], 0                                      // 00000001194C: BEBC0180
	v_readlane_b32 s82, v3, 10                                 // 000000011950: D2890052 00011503
	s_and_b32 s82, s82, 0xffffff                               // 000000011958: 8652FF52 00FFFFFF
	s_cmp_lt_u32 s82, s66                                      // 000000011960: BF0A4252
	s_cselect_b32 s20, s36, s60                                // 000000011964: 85143C24
	v_readlane_b32 s82, v3, 11                                 // 000000011968: D2890052 00011703
	s_and_b32 s82, s82, 0xffffff                               // 000000011970: 8652FF52 00FFFFFF
	s_cmp_lt_u32 s82, s66                                      // 000000011978: BF0A4252
	s_cselect_b32 s21, s36, s60                                // 00000001197C: 85153C24
	s_mov_b64 exec, s[20:21]                                   // 000000011980: BEFE0114
	buffer_store_dword v93, v6, s[8:11], 0 offen               // 000000011984: E0701000 80025D06
	buffer_store_dword v95, v6, s[8:11], 0 offen offset:128    // 00000001198C: E0701080 80025F06
	buffer_store_dword v97, v6, s[8:11], 0 offen offset:256    // 000000011994: E0701100 80026106
	buffer_store_dword v99, v6, s[8:11], 0 offen offset:384    // 00000001199C: E0701180 80026306
	buffer_store_dword v101, v6, s[8:11], 0 offen offset:512   // 0000000119A4: E0701200 80026506
	buffer_store_dword v103, v6, s[8:11], 0 offen offset:640   // 0000000119AC: E0701280 80026706
	buffer_store_dword v105, v6, s[8:11], 0 offen offset:768   // 0000000119B4: E0701300 80026906
	buffer_store_dword v107, v6, s[8:11], 0 offen offset:896   // 0000000119BC: E0701380 80026B06
	s_mov_b64 exec, s[36:37]                                   // 0000000119C4: BEFE0124
	s_branch label_41E4                                        // 0000000119C8: BF8205EE

00000000000119cc <label_3BF6>:
	ds_write_b64 v20, v[60:61]                                 // 0000000119CC: D89A0000 00003C14
	ds_write_b64 v20, v[64:65] offset:17408                    // 0000000119D4: D89A4400 00004014
	ds_write_b64 v20, v[68:69] offset:34816                    // 0000000119DC: D89A8800 00004414
	ds_write_b64 v20, v[72:73] offset:2176                     // 0000000119E4: D89A0880 00004814
	ds_write_b64 v20, v[76:77] offset:19584                    // 0000000119EC: D89A4C80 00004C14
	ds_write_b64 v20, v[80:81] offset:36992                    // 0000000119F4: D89A9080 00005014
	ds_write_b64 v20, v[84:85] offset:4352                     // 0000000119FC: D89A1100 00005414
	ds_write_b64 v20, v[88:89] offset:21760                    // 000000011A04: D89A5500 00005814
	ds_write_b64 v20, v[92:93] offset:39168                    // 000000011A0C: D89A9900 00005C14
	ds_write_b64 v20, v[96:97] offset:6528                     // 000000011A14: D89A1980 00006014
	ds_write_b64 v20, v[100:101] offset:23936                  // 000000011A1C: D89A5D80 00006414
	ds_write_b64 v20, v[104:105] offset:41344                  // 000000011A24: D89AA180 00006814
	ds_write_b64 v20, v[108:109] offset:8704                   // 000000011A2C: D89A2200 00006C14
	ds_write_b64 v20, v[112:113] offset:26112                  // 000000011A34: D89A6600 00007014
	ds_write_b64 v20, v[116:117] offset:43520                  // 000000011A3C: D89AAA00 00007414
	ds_write_b64 v20, v[120:121] offset:10880                  // 000000011A44: D89A2A80 00007814
	ds_write_b64 v20, v[124:125] offset:28288                  // 000000011A4C: D89A6E80 00007C14
	ds_write_b64 v20, v[128:129] offset:45696                  // 000000011A54: D89AB280 00008014
	ds_write_b64 v20, v[132:133] offset:13056                  // 000000011A5C: D89A3300 00008414
	ds_write_b64 v20, v[136:137] offset:30464                  // 000000011A64: D89A7700 00008814
	ds_write_b64 v20, v[140:141] offset:47872                  // 000000011A6C: D89ABB00 00008C14
	ds_write_b64 v20, v[144:145] offset:15232                  // 000000011A74: D89A3B80 00009014
	ds_write_b64 v20, v[148:149] offset:32640                  // 000000011A7C: D89A7F80 00009414
	ds_write_b64 v20, v[152:153] offset:50048                  // 000000011A84: D89AC380 00009814
	v_lshrrev_b32_e32 v4, 5, v0                                // 000000011A8C: 20080085
	v_xor_b32_e32 v5, 1, v4                                    // 000000011A90: 2A0A0881
	s_mul_i32 s60, s65, 2                                      // 000000011A94: 923C8241
	s_cmp_eq_u32 s88, 0                                        // 000000011A98: BF068058
	s_cselect_b32 s61, 1, 4                                    // 000000011A9C: 853D8481
	s_mul_i32 s60, s61, s60                                    // 000000011AA0: 923C3C3D
	v_readlane_b32 s82, v3, 0                                  // 000000011AA4: D2890052 00010103
	s_lshr_b32 s61, s82, 24                                    // 000000011AAC: 8F3D9852
	s_and_b32 s82, s82, 0xffffff                               // 000000011AB0: 8652FF52 00FFFFFF
	s_mul_i32 s82, s82, s71                                    // 000000011AB8: 92524752
	s_mul_i32 s61, s60, s61                                    // 000000011ABC: 923D3D3C
	s_add_u32 s82, s82, s61                                    // 000000011AC0: 80523D52
	v_mul_lo_u32 v6, v5, s82                                   // 000000011AC4: D2850006 0000A505
	v_readlane_b32 s82, v3, 1                                  // 000000011ACC: D2890052 00010303
	s_lshr_b32 s61, s82, 24                                    // 000000011AD4: 8F3D9852
	s_and_b32 s82, s82, 0xffffff                               // 000000011AD8: 8652FF52 00FFFFFF
	s_mul_i32 s82, s82, s71                                    // 000000011AE0: 92524752
	s_mul_i32 s61, s60, s61                                    // 000000011AE4: 923D3D3C
	s_add_u32 s82, s82, s61                                    // 000000011AE8: 80523D52
	v_mul_lo_u32 v7, v4, s82                                   // 000000011AEC: D2850007 0000A504
	v_add_u32_e32 v43, v6, v7                                  // 000000011AF4: 68560F06
	v_readlane_b32 s82, v3, 2                                  // 000000011AF8: D2890052 00010503
	s_lshr_b32 s61, s82, 24                                    // 000000011B00: 8F3D9852
	s_and_b32 s82, s82, 0xffffff                               // 000000011B04: 8652FF52 00FFFFFF
	s_mul_i32 s82, s82, s71                                    // 000000011B0C: 92524752
	s_mul_i32 s61, s60, s61                                    // 000000011B10: 923D3D3C
	s_add_u32 s82, s82, s61                                    // 000000011B14: 80523D52
	v_mul_lo_u32 v6, v5, s82                                   // 000000011B18: D2850006 0000A505
	v_readlane_b32 s82, v3, 3                                  // 000000011B20: D2890052 00010703
	s_lshr_b32 s61, s82, 24                                    // 000000011B28: 8F3D9852
	s_and_b32 s82, s82, 0xffffff                               // 000000011B2C: 8652FF52 00FFFFFF
	s_mul_i32 s82, s82, s71                                    // 000000011B34: 92524752
	s_mul_i32 s61, s60, s61                                    // 000000011B38: 923D3D3C
	s_add_u32 s82, s82, s61                                    // 000000011B3C: 80523D52
	v_mul_lo_u32 v7, v4, s82                                   // 000000011B40: D2850007 0000A504
	v_add_u32_e32 v44, v6, v7                                  // 000000011B48: 68580F06
	v_readlane_b32 s82, v3, 4                                  // 000000011B4C: D2890052 00010903
	s_lshr_b32 s61, s82, 24                                    // 000000011B54: 8F3D9852
	s_and_b32 s82, s82, 0xffffff                               // 000000011B58: 8652FF52 00FFFFFF
	s_mul_i32 s82, s82, s71                                    // 000000011B60: 92524752
	s_mul_i32 s61, s60, s61                                    // 000000011B64: 923D3D3C
	s_add_u32 s82, s82, s61                                    // 000000011B68: 80523D52
	v_mul_lo_u32 v6, v5, s82                                   // 000000011B6C: D2850006 0000A505
	v_readlane_b32 s82, v3, 5                                  // 000000011B74: D2890052 00010B03
	s_lshr_b32 s61, s82, 24                                    // 000000011B7C: 8F3D9852
	s_and_b32 s82, s82, 0xffffff                               // 000000011B80: 8652FF52 00FFFFFF
	s_mul_i32 s82, s82, s71                                    // 000000011B88: 92524752
	s_mul_i32 s61, s60, s61                                    // 000000011B8C: 923D3D3C
	s_add_u32 s82, s82, s61                                    // 000000011B90: 80523D52
	v_mul_lo_u32 v7, v4, s82                                   // 000000011B94: D2850007 0000A504
	v_add_u32_e32 v45, v6, v7                                  // 000000011B9C: 685A0F06
	v_readlane_b32 s82, v3, 6                                  // 000000011BA0: D2890052 00010D03
	s_lshr_b32 s61, s82, 24                                    // 000000011BA8: 8F3D9852
	s_and_b32 s82, s82, 0xffffff                               // 000000011BAC: 8652FF52 00FFFFFF
	s_mul_i32 s82, s82, s71                                    // 000000011BB4: 92524752
	s_mul_i32 s61, s60, s61                                    // 000000011BB8: 923D3D3C
	s_add_u32 s82, s82, s61                                    // 000000011BBC: 80523D52
	v_mul_lo_u32 v6, v5, s82                                   // 000000011BC0: D2850006 0000A505
	v_readlane_b32 s82, v3, 7                                  // 000000011BC8: D2890052 00010F03
	s_lshr_b32 s61, s82, 24                                    // 000000011BD0: 8F3D9852
	s_and_b32 s82, s82, 0xffffff                               // 000000011BD4: 8652FF52 00FFFFFF
	s_mul_i32 s82, s82, s71                                    // 000000011BDC: 92524752
	s_mul_i32 s61, s60, s61                                    // 000000011BE0: 923D3D3C
	s_add_u32 s82, s82, s61                                    // 000000011BE4: 80523D52
	v_mul_lo_u32 v7, v4, s82                                   // 000000011BE8: D2850007 0000A504
	v_add_u32_e32 v46, v6, v7                                  // 000000011BF0: 685C0F06
	v_readlane_b32 s82, v3, 8                                  // 000000011BF4: D2890052 00011103
	s_lshr_b32 s61, s82, 24                                    // 000000011BFC: 8F3D9852
	s_and_b32 s82, s82, 0xffffff                               // 000000011C00: 8652FF52 00FFFFFF
	s_mul_i32 s82, s82, s71                                    // 000000011C08: 92524752
	s_mul_i32 s61, s60, s61                                    // 000000011C0C: 923D3D3C
	s_add_u32 s82, s82, s61                                    // 000000011C10: 80523D52
	v_mul_lo_u32 v6, v5, s82                                   // 000000011C14: D2850006 0000A505
	v_readlane_b32 s82, v3, 9                                  // 000000011C1C: D2890052 00011303
	s_lshr_b32 s61, s82, 24                                    // 000000011C24: 8F3D9852
	s_and_b32 s82, s82, 0xffffff                               // 000000011C28: 8652FF52 00FFFFFF
	s_mul_i32 s82, s82, s71                                    // 000000011C30: 92524752
	s_mul_i32 s61, s60, s61                                    // 000000011C34: 923D3D3C
	s_add_u32 s82, s82, s61                                    // 000000011C38: 80523D52
	v_mul_lo_u32 v7, v4, s82                                   // 000000011C3C: D2850007 0000A504
	v_add_u32_e32 v47, v6, v7                                  // 000000011C44: 685E0F06
	v_readlane_b32 s82, v3, 10                                 // 000000011C48: D2890052 00011503
	s_lshr_b32 s61, s82, 24                                    // 000000011C50: 8F3D9852
	s_and_b32 s82, s82, 0xffffff                               // 000000011C54: 8652FF52 00FFFFFF
	s_mul_i32 s82, s82, s71                                    // 000000011C5C: 92524752
	s_mul_i32 s61, s60, s61                                    // 000000011C60: 923D3D3C
	s_add_u32 s82, s82, s61                                    // 000000011C64: 80523D52
	v_mul_lo_u32 v6, v5, s82                                   // 000000011C68: D2850006 0000A505
	v_readlane_b32 s82, v3, 11                                 // 000000011C70: D2890052 00011703
	s_lshr_b32 s61, s82, 24                                    // 000000011C78: 8F3D9852
	s_and_b32 s82, s82, 0xffffff                               // 000000011C7C: 8652FF52 00FFFFFF
	s_mul_i32 s82, s82, s71                                    // 000000011C84: 92524752
	s_mul_i32 s61, s60, s61                                    // 000000011C88: 923D3D3C
	s_add_u32 s82, s82, s61                                    // 000000011C8C: 80523D52
	v_mul_lo_u32 v7, v4, s82                                   // 000000011C90: D2850007 0000A504
	v_add_u32_e32 v48, v6, v7                                  // 000000011C98: 68600F06
	v_and_b32_e32 v4, 31, v0                                   // 000000011C9C: 2608009F
	v_lshrrev_b32_e32 v4, 1, v4                                // 000000011CA0: 20080881
	s_cmp_eq_u32 s88, 0                                        // 000000011CA4: BF068058
	s_cselect_b32 s61, 2, 4                                    // 000000011CA8: 853D8482
	v_mul_lo_u32 v4, v4, s61                                   // 000000011CAC: D2850004 00007B04
	v_and_b32_e64 v5, v0, 1                                    // 000000011CB4: D1130005 00010300
	v_add_u32_e32 v4, v4, v5                                   // 000000011CBC: 68080B04
	v_lshlrev_b32_e32 v4, 2, v4                                // 000000011CC0: 24080882
	v_add_u32_e32 v43, v43, v4                                 // 000000011CC4: 6856092B
	v_add_u32_e32 v44, v44, v4                                 // 000000011CC8: 6858092C
	v_add_u32_e32 v45, v45, v4                                 // 000000011CCC: 685A092D
	v_add_u32_e32 v46, v46, v4                                 // 000000011CD0: 685C092E
	v_add_u32_e32 v47, v47, v4                                 // 000000011CD4: 685E092F
	v_add_u32_e32 v48, v48, v4                                 // 000000011CD8: 68600930
	s_waitcnt lgkmcnt(0)                                       // 000000011CDC: BF8CC07F
	s_barrier                                                  // 000000011CE0: BF8A0000
	ds_read_b32 v60, v21                                       // 000000011CE4: D86C0000 3C000015
	ds_read_b32 v61, v21 offset:64                             // 000000011CEC: D86C0040 3D000015
	ds_read_b32 v64, v21 offset:2176                           // 000000011CF4: D86C0880 40000015
	ds_read_b32 v65, v21 offset:2240                           // 000000011CFC: D86C08C0 41000015
	ds_read_b32 v68, v21 offset:4352                           // 000000011D04: D86C1100 44000015
	ds_read_b32 v69, v21 offset:4416                           // 000000011D0C: D86C1140 45000015
	ds_read_b32 v72, v21 offset:6528                           // 000000011D14: D86C1980 48000015
	ds_read_b32 v73, v21 offset:6592                           // 000000011D1C: D86C19C0 49000015
	ds_read_b32 v76, v21 offset:8704                           // 000000011D24: D86C2200 4C000015
	ds_read_b32 v77, v21 offset:8768                           // 000000011D2C: D86C2240 4D000015
	ds_read_b32 v80, v21 offset:10880                          // 000000011D34: D86C2A80 50000015
	ds_read_b32 v81, v21 offset:10944                          // 000000011D3C: D86C2AC0 51000015
	ds_read_b32 v84, v21 offset:13056                          // 000000011D44: D86C3300 54000015
	ds_read_b32 v85, v21 offset:13120                          // 000000011D4C: D86C3340 55000015
	ds_read_b32 v88, v21 offset:15232                          // 000000011D54: D86C3B80 58000015
	ds_read_b32 v89, v21 offset:15296                          // 000000011D5C: D86C3BC0 59000015
	ds_read_b32 v92, v21 offset:17408                          // 000000011D64: D86C4400 5C000015
	ds_read_b32 v93, v21 offset:17472                          // 000000011D6C: D86C4440 5D000015
	ds_read_b32 v96, v21 offset:19584                          // 000000011D74: D86C4C80 60000015
	ds_read_b32 v97, v21 offset:19648                          // 000000011D7C: D86C4CC0 61000015
	ds_read_b32 v100, v21 offset:21760                         // 000000011D84: D86C5500 64000015
	ds_read_b32 v101, v21 offset:21824                         // 000000011D8C: D86C5540 65000015
	ds_read_b32 v104, v21 offset:23936                         // 000000011D94: D86C5D80 68000015
	ds_read_b32 v105, v21 offset:24000                         // 000000011D9C: D86C5DC0 69000015
	ds_read_b32 v108, v21 offset:26112                         // 000000011DA4: D86C6600 6C000015
	ds_read_b32 v109, v21 offset:26176                         // 000000011DAC: D86C6640 6D000015
	ds_read_b32 v112, v21 offset:28288                         // 000000011DB4: D86C6E80 70000015
	ds_read_b32 v113, v21 offset:28352                         // 000000011DBC: D86C6EC0 71000015
	ds_read_b32 v116, v21 offset:30464                         // 000000011DC4: D86C7700 74000015
	ds_read_b32 v117, v21 offset:30528                         // 000000011DCC: D86C7740 75000015
	ds_read_b32 v120, v21 offset:32640                         // 000000011DD4: D86C7F80 78000015
	ds_read_b32 v121, v21 offset:32704                         // 000000011DDC: D86C7FC0 79000015
	ds_read_b32 v124, v21 offset:34816                         // 000000011DE4: D86C8800 7C000015
	ds_read_b32 v125, v21 offset:34880                         // 000000011DEC: D86C8840 7D000015
	ds_read_b32 v128, v21 offset:36992                         // 000000011DF4: D86C9080 80000015
	ds_read_b32 v129, v21 offset:37056                         // 000000011DFC: D86C90C0 81000015
	ds_read_b32 v132, v21 offset:39168                         // 000000011E04: D86C9900 84000015
	ds_read_b32 v133, v21 offset:39232                         // 000000011E0C: D86C9940 85000015
	ds_read_b32 v136, v21 offset:41344                         // 000000011E14: D86CA180 88000015
	ds_read_b32 v137, v21 offset:41408                         // 000000011E1C: D86CA1C0 89000015
	ds_read_b32 v140, v21 offset:43520                         // 000000011E24: D86CAA00 8C000015
	ds_read_b32 v141, v21 offset:43584                         // 000000011E2C: D86CAA40 8D000015
	ds_read_b32 v144, v21 offset:45696                         // 000000011E34: D86CB280 90000015
	ds_read_b32 v145, v21 offset:45760                         // 000000011E3C: D86CB2C0 91000015
	ds_read_b32 v148, v21 offset:47872                         // 000000011E44: D86CBB00 94000015
	ds_read_b32 v149, v21 offset:47936                         // 000000011E4C: D86CBB40 95000015
	ds_read_b32 v152, v21 offset:50048                         // 000000011E54: D86CC380 98000015
	ds_read_b32 v153, v21 offset:50112                         // 000000011E5C: D86CC3C0 99000015
	s_waitcnt lgkmcnt(0)                                       // 000000011E64: BF8CC07F
	s_mov_b32 s36, -1                                          // 000000011E68: BEA400C1
	s_mov_b32 s37, -1                                          // 000000011E6C: BEA500C1
	v_mov_b32_e32 v7, 0                                        // 000000011E70: 7E0E0280
	s_mov_b64 exec, s[36:37]                                   // 000000011E74: BEFE0124
	v_mov_b32_e32 v6, v43                                      // 000000011E78: 7E0C032B
	s_mov_b64 s[60:61], 0                                      // 000000011E7C: BEBC0180
	v_readlane_b32 s82, v3, 0                                  // 000000011E80: D2890052 00010103
	s_and_b32 s82, s82, 0xffffff                               // 000000011E88: 8652FF52 00FFFFFF
	s_cmp_lt_u32 s82, s66                                      // 000000011E90: BF0A4252
	s_cselect_b32 s20, s36, s60                                // 000000011E94: 85143C24
	v_readlane_b32 s82, v3, 1                                  // 000000011E98: D2890052 00010303
	s_and_b32 s82, s82, 0xffffff                               // 000000011EA0: 8652FF52 00FFFFFF
	s_cmp_lt_u32 s82, s66                                      // 000000011EA8: BF0A4252
	s_cselect_b32 s21, s36, s60                                // 000000011EAC: 85153C24
	s_mov_b64 exec, s[20:21]                                   // 000000011EB0: BEFE0114
	global_atomic_add_f32 v6, v60, s[8:9]                      // 000000011EB4: DD348000 00083C06
	global_atomic_add_f32 v6, v64, s[8:9] offset:256           // 000000011EBC: DD348100 00084006
	global_atomic_add_f32 v6, v68, s[8:9] offset:512           // 000000011EC4: DD348200 00084406
	global_atomic_add_f32 v6, v72, s[8:9] offset:768           // 000000011ECC: DD348300 00084806
	global_atomic_add_f32 v6, v76, s[8:9] offset:1024          // 000000011ED4: DD348400 00084C06
	global_atomic_add_f32 v6, v80, s[8:9] offset:1280          // 000000011EDC: DD348500 00085006
	global_atomic_add_f32 v6, v84, s[8:9] offset:1536          // 000000011EE4: DD348600 00085406
	global_atomic_add_f32 v6, v88, s[8:9] offset:1792          // 000000011EEC: DD348700 00085806
	s_mov_b64 exec, s[36:37]                                   // 000000011EF4: BEFE0124
	v_mov_b32_e32 v6, v44                                      // 000000011EF8: 7E0C032C
	s_mov_b64 s[60:61], 0                                      // 000000011EFC: BEBC0180
	v_readlane_b32 s82, v3, 2                                  // 000000011F00: D2890052 00010503
	s_and_b32 s82, s82, 0xffffff                               // 000000011F08: 8652FF52 00FFFFFF
	s_cmp_lt_u32 s82, s66                                      // 000000011F10: BF0A4252
	s_cselect_b32 s20, s36, s60                                // 000000011F14: 85143C24
	v_readlane_b32 s82, v3, 3                                  // 000000011F18: D2890052 00010703
	s_and_b32 s82, s82, 0xffffff                               // 000000011F20: 8652FF52 00FFFFFF
	s_cmp_lt_u32 s82, s66                                      // 000000011F28: BF0A4252
	s_cselect_b32 s21, s36, s60                                // 000000011F2C: 85153C24
	s_mov_b64 exec, s[20:21]                                   // 000000011F30: BEFE0114
	global_atomic_add_f32 v6, v61, s[8:9]                      // 000000011F34: DD348000 00083D06
	global_atomic_add_f32 v6, v65, s[8:9] offset:256           // 000000011F3C: DD348100 00084106
	global_atomic_add_f32 v6, v69, s[8:9] offset:512           // 000000011F44: DD348200 00084506
	global_atomic_add_f32 v6, v73, s[8:9] offset:768           // 000000011F4C: DD348300 00084906
	global_atomic_add_f32 v6, v77, s[8:9] offset:1024          // 000000011F54: DD348400 00084D06
	global_atomic_add_f32 v6, v81, s[8:9] offset:1280          // 000000011F5C: DD348500 00085106
	global_atomic_add_f32 v6, v85, s[8:9] offset:1536          // 000000011F64: DD348600 00085506
	global_atomic_add_f32 v6, v89, s[8:9] offset:1792          // 000000011F6C: DD348700 00085906
	s_mov_b64 exec, s[36:37]                                   // 000000011F74: BEFE0124
	v_mov_b32_e32 v6, v45                                      // 000000011F78: 7E0C032D
	s_mov_b64 s[60:61], 0                                      // 000000011F7C: BEBC0180
	v_readlane_b32 s82, v3, 4                                  // 000000011F80: D2890052 00010903
	s_and_b32 s82, s82, 0xffffff                               // 000000011F88: 8652FF52 00FFFFFF
	s_cmp_lt_u32 s82, s66                                      // 000000011F90: BF0A4252
	s_cselect_b32 s20, s36, s60                                // 000000011F94: 85143C24
	v_readlane_b32 s82, v3, 5                                  // 000000011F98: D2890052 00010B03
	s_and_b32 s82, s82, 0xffffff                               // 000000011FA0: 8652FF52 00FFFFFF
	s_cmp_lt_u32 s82, s66                                      // 000000011FA8: BF0A4252
	s_cselect_b32 s21, s36, s60                                // 000000011FAC: 85153C24
	s_mov_b64 exec, s[20:21]                                   // 000000011FB0: BEFE0114
	global_atomic_add_f32 v6, v92, s[8:9]                      // 000000011FB4: DD348000 00085C06
	global_atomic_add_f32 v6, v96, s[8:9] offset:256           // 000000011FBC: DD348100 00086006
	global_atomic_add_f32 v6, v100, s[8:9] offset:512          // 000000011FC4: DD348200 00086406
	global_atomic_add_f32 v6, v104, s[8:9] offset:768          // 000000011FCC: DD348300 00086806
	global_atomic_add_f32 v6, v108, s[8:9] offset:1024         // 000000011FD4: DD348400 00086C06
	global_atomic_add_f32 v6, v112, s[8:9] offset:1280         // 000000011FDC: DD348500 00087006
	global_atomic_add_f32 v6, v116, s[8:9] offset:1536         // 000000011FE4: DD348600 00087406
	global_atomic_add_f32 v6, v120, s[8:9] offset:1792         // 000000011FEC: DD348700 00087806
	s_mov_b64 exec, s[36:37]                                   // 000000011FF4: BEFE0124
	v_mov_b32_e32 v6, v46                                      // 000000011FF8: 7E0C032E
	s_mov_b64 s[60:61], 0                                      // 000000011FFC: BEBC0180
	v_readlane_b32 s82, v3, 6                                  // 000000012000: D2890052 00010D03
	s_and_b32 s82, s82, 0xffffff                               // 000000012008: 8652FF52 00FFFFFF
	s_cmp_lt_u32 s82, s66                                      // 000000012010: BF0A4252
	s_cselect_b32 s20, s36, s60                                // 000000012014: 85143C24
	v_readlane_b32 s82, v3, 7                                  // 000000012018: D2890052 00010F03
	s_and_b32 s82, s82, 0xffffff                               // 000000012020: 8652FF52 00FFFFFF
	s_cmp_lt_u32 s82, s66                                      // 000000012028: BF0A4252
	s_cselect_b32 s21, s36, s60                                // 00000001202C: 85153C24
	s_mov_b64 exec, s[20:21]                                   // 000000012030: BEFE0114
	global_atomic_add_f32 v6, v93, s[8:9]                      // 000000012034: DD348000 00085D06
	global_atomic_add_f32 v6, v97, s[8:9] offset:256           // 00000001203C: DD348100 00086106
	global_atomic_add_f32 v6, v101, s[8:9] offset:512          // 000000012044: DD348200 00086506
	global_atomic_add_f32 v6, v105, s[8:9] offset:768          // 00000001204C: DD348300 00086906
	global_atomic_add_f32 v6, v109, s[8:9] offset:1024         // 000000012054: DD348400 00086D06
	global_atomic_add_f32 v6, v113, s[8:9] offset:1280         // 00000001205C: DD348500 00087106
	global_atomic_add_f32 v6, v117, s[8:9] offset:1536         // 000000012064: DD348600 00087506
	global_atomic_add_f32 v6, v121, s[8:9] offset:1792         // 00000001206C: DD348700 00087906
	s_mov_b64 exec, s[36:37]                                   // 000000012074: BEFE0124
	v_mov_b32_e32 v6, v47                                      // 000000012078: 7E0C032F
	s_mov_b64 s[60:61], 0                                      // 00000001207C: BEBC0180
	v_readlane_b32 s82, v3, 8                                  // 000000012080: D2890052 00011103
	s_and_b32 s82, s82, 0xffffff                               // 000000012088: 8652FF52 00FFFFFF
	s_cmp_lt_u32 s82, s66                                      // 000000012090: BF0A4252
	s_cselect_b32 s20, s36, s60                                // 000000012094: 85143C24
	v_readlane_b32 s82, v3, 9                                  // 000000012098: D2890052 00011303
	s_and_b32 s82, s82, 0xffffff                               // 0000000120A0: 8652FF52 00FFFFFF
	s_cmp_lt_u32 s82, s66                                      // 0000000120A8: BF0A4252
	s_cselect_b32 s21, s36, s60                                // 0000000120AC: 85153C24
	s_mov_b64 exec, s[20:21]                                   // 0000000120B0: BEFE0114
	global_atomic_add_f32 v6, v124, s[8:9]                     // 0000000120B4: DD348000 00087C06
	global_atomic_add_f32 v6, v128, s[8:9] offset:256          // 0000000120BC: DD348100 00088006
	global_atomic_add_f32 v6, v132, s[8:9] offset:512          // 0000000120C4: DD348200 00088406
	global_atomic_add_f32 v6, v136, s[8:9] offset:768          // 0000000120CC: DD348300 00088806
	global_atomic_add_f32 v6, v140, s[8:9] offset:1024         // 0000000120D4: DD348400 00088C06
	global_atomic_add_f32 v6, v144, s[8:9] offset:1280         // 0000000120DC: DD348500 00089006
	global_atomic_add_f32 v6, v148, s[8:9] offset:1536         // 0000000120E4: DD348600 00089406
	global_atomic_add_f32 v6, v152, s[8:9] offset:1792         // 0000000120EC: DD348700 00089806
	s_mov_b64 exec, s[36:37]                                   // 0000000120F4: BEFE0124
	v_mov_b32_e32 v6, v48                                      // 0000000120F8: 7E0C0330
	s_mov_b64 s[60:61], 0                                      // 0000000120FC: BEBC0180
	v_readlane_b32 s82, v3, 10                                 // 000000012100: D2890052 00011503
	s_and_b32 s82, s82, 0xffffff                               // 000000012108: 8652FF52 00FFFFFF
	s_cmp_lt_u32 s82, s66                                      // 000000012110: BF0A4252
	s_cselect_b32 s20, s36, s60                                // 000000012114: 85143C24
	v_readlane_b32 s82, v3, 11                                 // 000000012118: D2890052 00011703
	s_and_b32 s82, s82, 0xffffff                               // 000000012120: 8652FF52 00FFFFFF
	s_cmp_lt_u32 s82, s66                                      // 000000012128: BF0A4252
	s_cselect_b32 s21, s36, s60                                // 00000001212C: 85153C24
	s_mov_b64 exec, s[20:21]                                   // 000000012130: BEFE0114
	global_atomic_add_f32 v6, v125, s[8:9]                     // 000000012134: DD348000 00087D06
	global_atomic_add_f32 v6, v129, s[8:9] offset:256          // 00000001213C: DD348100 00088106
	global_atomic_add_f32 v6, v133, s[8:9] offset:512          // 000000012144: DD348200 00088506
	global_atomic_add_f32 v6, v137, s[8:9] offset:768          // 00000001214C: DD348300 00088906
	global_atomic_add_f32 v6, v141, s[8:9] offset:1024         // 000000012154: DD348400 00088D06
	global_atomic_add_f32 v6, v145, s[8:9] offset:1280         // 00000001215C: DD348500 00089106
	global_atomic_add_f32 v6, v149, s[8:9] offset:1536         // 000000012164: DD348600 00089506
	global_atomic_add_f32 v6, v153, s[8:9] offset:1792         // 00000001216C: DD348700 00089906
	s_mov_b64 exec, s[36:37]                                   // 000000012174: BEFE0124
	ds_write_b64 v20, v[62:63]                                 // 000000012178: D89A0000 00003E14
	ds_write_b64 v20, v[66:67] offset:17408                    // 000000012180: D89A4400 00004214
	ds_write_b64 v20, v[70:71] offset:34816                    // 000000012188: D89A8800 00004614
	ds_write_b64 v20, v[74:75] offset:2176                     // 000000012190: D89A0880 00004A14
	ds_write_b64 v20, v[78:79] offset:19584                    // 000000012198: D89A4C80 00004E14
	ds_write_b64 v20, v[82:83] offset:36992                    // 0000000121A0: D89A9080 00005214
	ds_write_b64 v20, v[86:87] offset:4352                     // 0000000121A8: D89A1100 00005614
	ds_write_b64 v20, v[90:91] offset:21760                    // 0000000121B0: D89A5500 00005A14
	ds_write_b64 v20, v[94:95] offset:39168                    // 0000000121B8: D89A9900 00005E14
	ds_write_b64 v20, v[98:99] offset:6528                     // 0000000121C0: D89A1980 00006214
	ds_write_b64 v20, v[102:103] offset:23936                  // 0000000121C8: D89A5D80 00006614
	ds_write_b64 v20, v[106:107] offset:41344                  // 0000000121D0: D89AA180 00006A14
	ds_write_b64 v20, v[110:111] offset:8704                   // 0000000121D8: D89A2200 00006E14
	ds_write_b64 v20, v[114:115] offset:26112                  // 0000000121E0: D89A6600 00007214
	ds_write_b64 v20, v[118:119] offset:43520                  // 0000000121E8: D89AAA00 00007614
	ds_write_b64 v20, v[122:123] offset:10880                  // 0000000121F0: D89A2A80 00007A14
	ds_write_b64 v20, v[126:127] offset:28288                  // 0000000121F8: D89A6E80 00007E14
	ds_write_b64 v20, v[130:131] offset:45696                  // 000000012200: D89AB280 00008214
	ds_write_b64 v20, v[134:135] offset:13056                  // 000000012208: D89A3300 00008614
	ds_write_b64 v20, v[138:139] offset:30464                  // 000000012210: D89A7700 00008A14
	ds_write_b64 v20, v[142:143] offset:47872                  // 000000012218: D89ABB00 00008E14
	ds_write_b64 v20, v[146:147] offset:15232                  // 000000012220: D89A3B80 00009214
	ds_write_b64 v20, v[150:151] offset:32640                  // 000000012228: D89A7F80 00009614
	ds_write_b64 v20, v[154:155] offset:50048                  // 000000012230: D89AC380 00009A14
	s_waitcnt lgkmcnt(0)                                       // 000000012238: BF8CC07F
	s_barrier                                                  // 00000001223C: BF8A0000
	ds_read_b32 v62, v21                                       // 000000012240: D86C0000 3E000015
	ds_read_b32 v63, v21 offset:64                             // 000000012248: D86C0040 3F000015
	ds_read_b32 v66, v21 offset:2176                           // 000000012250: D86C0880 42000015
	ds_read_b32 v67, v21 offset:2240                           // 000000012258: D86C08C0 43000015
	ds_read_b32 v70, v21 offset:4352                           // 000000012260: D86C1100 46000015
	ds_read_b32 v71, v21 offset:4416                           // 000000012268: D86C1140 47000015
	ds_read_b32 v74, v21 offset:6528                           // 000000012270: D86C1980 4A000015
	ds_read_b32 v75, v21 offset:6592                           // 000000012278: D86C19C0 4B000015
	ds_read_b32 v78, v21 offset:8704                           // 000000012280: D86C2200 4E000015
	ds_read_b32 v79, v21 offset:8768                           // 000000012288: D86C2240 4F000015
	ds_read_b32 v82, v21 offset:10880                          // 000000012290: D86C2A80 52000015
	ds_read_b32 v83, v21 offset:10944                          // 000000012298: D86C2AC0 53000015
	ds_read_b32 v86, v21 offset:13056                          // 0000000122A0: D86C3300 56000015
	ds_read_b32 v87, v21 offset:13120                          // 0000000122A8: D86C3340 57000015
	ds_read_b32 v90, v21 offset:15232                          // 0000000122B0: D86C3B80 5A000015
	ds_read_b32 v91, v21 offset:15296                          // 0000000122B8: D86C3BC0 5B000015
	ds_read_b32 v94, v21 offset:17408                          // 0000000122C0: D86C4400 5E000015
	ds_read_b32 v95, v21 offset:17472                          // 0000000122C8: D86C4440 5F000015
	ds_read_b32 v98, v21 offset:19584                          // 0000000122D0: D86C4C80 62000015
	ds_read_b32 v99, v21 offset:19648                          // 0000000122D8: D86C4CC0 63000015
	ds_read_b32 v102, v21 offset:21760                         // 0000000122E0: D86C5500 66000015
	ds_read_b32 v103, v21 offset:21824                         // 0000000122E8: D86C5540 67000015
	ds_read_b32 v106, v21 offset:23936                         // 0000000122F0: D86C5D80 6A000015
	ds_read_b32 v107, v21 offset:24000                         // 0000000122F8: D86C5DC0 6B000015
	ds_read_b32 v110, v21 offset:26112                         // 000000012300: D86C6600 6E000015
	ds_read_b32 v111, v21 offset:26176                         // 000000012308: D86C6640 6F000015
	ds_read_b32 v114, v21 offset:28288                         // 000000012310: D86C6E80 72000015
	ds_read_b32 v115, v21 offset:28352                         // 000000012318: D86C6EC0 73000015
	ds_read_b32 v118, v21 offset:30464                         // 000000012320: D86C7700 76000015
	ds_read_b32 v119, v21 offset:30528                         // 000000012328: D86C7740 77000015
	ds_read_b32 v122, v21 offset:32640                         // 000000012330: D86C7F80 7A000015
	ds_read_b32 v123, v21 offset:32704                         // 000000012338: D86C7FC0 7B000015
	ds_read_b32 v126, v21 offset:34816                         // 000000012340: D86C8800 7E000015
	ds_read_b32 v127, v21 offset:34880                         // 000000012348: D86C8840 7F000015
	ds_read_b32 v130, v21 offset:36992                         // 000000012350: D86C9080 82000015
	ds_read_b32 v131, v21 offset:37056                         // 000000012358: D86C90C0 83000015
	ds_read_b32 v134, v21 offset:39168                         // 000000012360: D86C9900 86000015
	ds_read_b32 v135, v21 offset:39232                         // 000000012368: D86C9940 87000015
	ds_read_b32 v138, v21 offset:41344                         // 000000012370: D86CA180 8A000015
	ds_read_b32 v139, v21 offset:41408                         // 000000012378: D86CA1C0 8B000015
	ds_read_b32 v142, v21 offset:43520                         // 000000012380: D86CAA00 8E000015
	ds_read_b32 v143, v21 offset:43584                         // 000000012388: D86CAA40 8F000015
	ds_read_b32 v146, v21 offset:45696                         // 000000012390: D86CB280 92000015
	ds_read_b32 v147, v21 offset:45760                         // 000000012398: D86CB2C0 93000015
	ds_read_b32 v150, v21 offset:47872                         // 0000000123A0: D86CBB00 96000015
	ds_read_b32 v151, v21 offset:47936                         // 0000000123A8: D86CBB40 97000015
	ds_read_b32 v154, v21 offset:50048                         // 0000000123B0: D86CC380 9A000015
	ds_read_b32 v155, v21 offset:50112                         // 0000000123B8: D86CC3C0 9B000015
	s_waitcnt lgkmcnt(0)                                       // 0000000123C0: BF8CC07F
	v_mov_b32_e32 v7, 0                                        // 0000000123C4: 7E0E0280
	s_mov_b64 exec, s[36:37]                                   // 0000000123C8: BEFE0124
	v_mov_b32_e32 v6, v43                                      // 0000000123CC: 7E0C032B
	s_mov_b64 s[60:61], 0                                      // 0000000123D0: BEBC0180
	v_readlane_b32 s82, v3, 0                                  // 0000000123D4: D2890052 00010103
	s_and_b32 s82, s82, 0xffffff                               // 0000000123DC: 8652FF52 00FFFFFF
	s_cmp_lt_u32 s82, s66                                      // 0000000123E4: BF0A4252
	s_cselect_b32 s20, s36, s60                                // 0000000123E8: 85143C24
	v_readlane_b32 s82, v3, 1                                  // 0000000123EC: D2890052 00010303
	s_and_b32 s82, s82, 0xffffff                               // 0000000123F4: 8652FF52 00FFFFFF
	s_cmp_lt_u32 s82, s66                                      // 0000000123FC: BF0A4252
	s_cselect_b32 s21, s36, s60                                // 000000012400: 85153C24
	s_mov_b64 exec, s[20:21]                                   // 000000012404: BEFE0114
	global_atomic_add_f32 v6, v62, s[8:9] offset:8             // 000000012408: DD348008 00083E06
	global_atomic_add_f32 v6, v66, s[8:9] offset:264           // 000000012410: DD348108 00084206
	global_atomic_add_f32 v6, v70, s[8:9] offset:520           // 000000012418: DD348208 00084606
	global_atomic_add_f32 v6, v74, s[8:9] offset:776           // 000000012420: DD348308 00084A06
	global_atomic_add_f32 v6, v78, s[8:9] offset:1032          // 000000012428: DD348408 00084E06
	global_atomic_add_f32 v6, v82, s[8:9] offset:1288          // 000000012430: DD348508 00085206
	global_atomic_add_f32 v6, v86, s[8:9] offset:1544          // 000000012438: DD348608 00085606
	global_atomic_add_f32 v6, v90, s[8:9] offset:1800          // 000000012440: DD348708 00085A06
	s_mov_b64 exec, s[36:37]                                   // 000000012448: BEFE0124
	v_mov_b32_e32 v6, v44                                      // 00000001244C: 7E0C032C
	s_mov_b64 s[60:61], 0                                      // 000000012450: BEBC0180
	v_readlane_b32 s82, v3, 2                                  // 000000012454: D2890052 00010503
	s_and_b32 s82, s82, 0xffffff                               // 00000001245C: 8652FF52 00FFFFFF
	s_cmp_lt_u32 s82, s66                                      // 000000012464: BF0A4252
	s_cselect_b32 s20, s36, s60                                // 000000012468: 85143C24
	v_readlane_b32 s82, v3, 3                                  // 00000001246C: D2890052 00010703
	s_and_b32 s82, s82, 0xffffff                               // 000000012474: 8652FF52 00FFFFFF
	s_cmp_lt_u32 s82, s66                                      // 00000001247C: BF0A4252
	s_cselect_b32 s21, s36, s60                                // 000000012480: 85153C24
	s_mov_b64 exec, s[20:21]                                   // 000000012484: BEFE0114
	global_atomic_add_f32 v6, v63, s[8:9] offset:8             // 000000012488: DD348008 00083F06
	global_atomic_add_f32 v6, v67, s[8:9] offset:264           // 000000012490: DD348108 00084306
	global_atomic_add_f32 v6, v71, s[8:9] offset:520           // 000000012498: DD348208 00084706
	global_atomic_add_f32 v6, v75, s[8:9] offset:776           // 0000000124A0: DD348308 00084B06
	global_atomic_add_f32 v6, v79, s[8:9] offset:1032          // 0000000124A8: DD348408 00084F06
	global_atomic_add_f32 v6, v83, s[8:9] offset:1288          // 0000000124B0: DD348508 00085306
	global_atomic_add_f32 v6, v87, s[8:9] offset:1544          // 0000000124B8: DD348608 00085706
	global_atomic_add_f32 v6, v91, s[8:9] offset:1800          // 0000000124C0: DD348708 00085B06
	s_mov_b64 exec, s[36:37]                                   // 0000000124C8: BEFE0124
	v_mov_b32_e32 v6, v45                                      // 0000000124CC: 7E0C032D
	s_mov_b64 s[60:61], 0                                      // 0000000124D0: BEBC0180
	v_readlane_b32 s82, v3, 4                                  // 0000000124D4: D2890052 00010903
	s_and_b32 s82, s82, 0xffffff                               // 0000000124DC: 8652FF52 00FFFFFF
	s_cmp_lt_u32 s82, s66                                      // 0000000124E4: BF0A4252
	s_cselect_b32 s20, s36, s60                                // 0000000124E8: 85143C24
	v_readlane_b32 s82, v3, 5                                  // 0000000124EC: D2890052 00010B03
	s_and_b32 s82, s82, 0xffffff                               // 0000000124F4: 8652FF52 00FFFFFF
	s_cmp_lt_u32 s82, s66                                      // 0000000124FC: BF0A4252
	s_cselect_b32 s21, s36, s60                                // 000000012500: 85153C24
	s_mov_b64 exec, s[20:21]                                   // 000000012504: BEFE0114
	global_atomic_add_f32 v6, v94, s[8:9] offset:8             // 000000012508: DD348008 00085E06
	global_atomic_add_f32 v6, v98, s[8:9] offset:264           // 000000012510: DD348108 00086206
	global_atomic_add_f32 v6, v102, s[8:9] offset:520          // 000000012518: DD348208 00086606
	global_atomic_add_f32 v6, v106, s[8:9] offset:776          // 000000012520: DD348308 00086A06
	global_atomic_add_f32 v6, v110, s[8:9] offset:1032         // 000000012528: DD348408 00086E06
	global_atomic_add_f32 v6, v114, s[8:9] offset:1288         // 000000012530: DD348508 00087206
	global_atomic_add_f32 v6, v118, s[8:9] offset:1544         // 000000012538: DD348608 00087606
	global_atomic_add_f32 v6, v122, s[8:9] offset:1800         // 000000012540: DD348708 00087A06
	s_mov_b64 exec, s[36:37]                                   // 000000012548: BEFE0124
	v_mov_b32_e32 v6, v46                                      // 00000001254C: 7E0C032E
	s_mov_b64 s[60:61], 0                                      // 000000012550: BEBC0180
	v_readlane_b32 s82, v3, 6                                  // 000000012554: D2890052 00010D03
	s_and_b32 s82, s82, 0xffffff                               // 00000001255C: 8652FF52 00FFFFFF
	s_cmp_lt_u32 s82, s66                                      // 000000012564: BF0A4252
	s_cselect_b32 s20, s36, s60                                // 000000012568: 85143C24
	v_readlane_b32 s82, v3, 7                                  // 00000001256C: D2890052 00010F03
	s_and_b32 s82, s82, 0xffffff                               // 000000012574: 8652FF52 00FFFFFF
	s_cmp_lt_u32 s82, s66                                      // 00000001257C: BF0A4252
	s_cselect_b32 s21, s36, s60                                // 000000012580: 85153C24
	s_mov_b64 exec, s[20:21]                                   // 000000012584: BEFE0114
	global_atomic_add_f32 v6, v95, s[8:9] offset:8             // 000000012588: DD348008 00085F06
	global_atomic_add_f32 v6, v99, s[8:9] offset:264           // 000000012590: DD348108 00086306
	global_atomic_add_f32 v6, v103, s[8:9] offset:520          // 000000012598: DD348208 00086706
	global_atomic_add_f32 v6, v107, s[8:9] offset:776          // 0000000125A0: DD348308 00086B06
	global_atomic_add_f32 v6, v111, s[8:9] offset:1032         // 0000000125A8: DD348408 00086F06
	global_atomic_add_f32 v6, v115, s[8:9] offset:1288         // 0000000125B0: DD348508 00087306
	global_atomic_add_f32 v6, v119, s[8:9] offset:1544         // 0000000125B8: DD348608 00087706
	global_atomic_add_f32 v6, v123, s[8:9] offset:1800         // 0000000125C0: DD348708 00087B06
	s_mov_b64 exec, s[36:37]                                   // 0000000125C8: BEFE0124
	v_mov_b32_e32 v6, v47                                      // 0000000125CC: 7E0C032F
	s_mov_b64 s[60:61], 0                                      // 0000000125D0: BEBC0180
	v_readlane_b32 s82, v3, 8                                  // 0000000125D4: D2890052 00011103
	s_and_b32 s82, s82, 0xffffff                               // 0000000125DC: 8652FF52 00FFFFFF
	s_cmp_lt_u32 s82, s66                                      // 0000000125E4: BF0A4252
	s_cselect_b32 s20, s36, s60                                // 0000000125E8: 85143C24
	v_readlane_b32 s82, v3, 9                                  // 0000000125EC: D2890052 00011303
	s_and_b32 s82, s82, 0xffffff                               // 0000000125F4: 8652FF52 00FFFFFF
	s_cmp_lt_u32 s82, s66                                      // 0000000125FC: BF0A4252
	s_cselect_b32 s21, s36, s60                                // 000000012600: 85153C24
	s_mov_b64 exec, s[20:21]                                   // 000000012604: BEFE0114
	global_atomic_add_f32 v6, v126, s[8:9] offset:8            // 000000012608: DD348008 00087E06
	global_atomic_add_f32 v6, v130, s[8:9] offset:264          // 000000012610: DD348108 00088206
	global_atomic_add_f32 v6, v134, s[8:9] offset:520          // 000000012618: DD348208 00088606
	global_atomic_add_f32 v6, v138, s[8:9] offset:776          // 000000012620: DD348308 00088A06
	global_atomic_add_f32 v6, v142, s[8:9] offset:1032         // 000000012628: DD348408 00088E06
	global_atomic_add_f32 v6, v146, s[8:9] offset:1288         // 000000012630: DD348508 00089206
	global_atomic_add_f32 v6, v150, s[8:9] offset:1544         // 000000012638: DD348608 00089606
	global_atomic_add_f32 v6, v154, s[8:9] offset:1800         // 000000012640: DD348708 00089A06
	s_mov_b64 exec, s[36:37]                                   // 000000012648: BEFE0124
	v_mov_b32_e32 v6, v48                                      // 00000001264C: 7E0C0330
	s_mov_b64 s[60:61], 0                                      // 000000012650: BEBC0180
	v_readlane_b32 s82, v3, 10                                 // 000000012654: D2890052 00011503
	s_and_b32 s82, s82, 0xffffff                               // 00000001265C: 8652FF52 00FFFFFF
	s_cmp_lt_u32 s82, s66                                      // 000000012664: BF0A4252
	s_cselect_b32 s20, s36, s60                                // 000000012668: 85143C24
	v_readlane_b32 s82, v3, 11                                 // 00000001266C: D2890052 00011703
	s_and_b32 s82, s82, 0xffffff                               // 000000012674: 8652FF52 00FFFFFF
	s_cmp_lt_u32 s82, s66                                      // 00000001267C: BF0A4252
	s_cselect_b32 s21, s36, s60                                // 000000012680: 85153C24
	s_mov_b64 exec, s[20:21]                                   // 000000012684: BEFE0114
	global_atomic_add_f32 v6, v127, s[8:9] offset:8            // 000000012688: DD348008 00087F06
	global_atomic_add_f32 v6, v131, s[8:9] offset:264          // 000000012690: DD348108 00088306
	global_atomic_add_f32 v6, v135, s[8:9] offset:520          // 000000012698: DD348208 00088706
	global_atomic_add_f32 v6, v139, s[8:9] offset:776          // 0000000126A0: DD348308 00088B06
	global_atomic_add_f32 v6, v143, s[8:9] offset:1032         // 0000000126A8: DD348408 00088F06
	global_atomic_add_f32 v6, v147, s[8:9] offset:1288         // 0000000126B0: DD348508 00089306
	global_atomic_add_f32 v6, v151, s[8:9] offset:1544         // 0000000126B8: DD348608 00089706
	global_atomic_add_f32 v6, v155, s[8:9] offset:1800         // 0000000126C0: DD348708 00089B06
	s_mov_b64 exec, s[36:37]                                   // 0000000126C8: BEFE0124
	ds_write_b64 v20, v[156:157]                               // 0000000126CC: D89A0000 00009C14
	ds_write_b64 v20, v[160:161] offset:17408                  // 0000000126D4: D89A4400 0000A014
	ds_write_b64 v20, v[164:165] offset:34816                  // 0000000126DC: D89A8800 0000A414
	ds_write_b64 v20, v[168:169] offset:2176                   // 0000000126E4: D89A0880 0000A814
	ds_write_b64 v20, v[172:173] offset:19584                  // 0000000126EC: D89A4C80 0000AC14
	ds_write_b64 v20, v[176:177] offset:36992                  // 0000000126F4: D89A9080 0000B014
	ds_write_b64 v20, v[180:181] offset:4352                   // 0000000126FC: D89A1100 0000B414
	ds_write_b64 v20, v[184:185] offset:21760                  // 000000012704: D89A5500 0000B814
	ds_write_b64 v20, v[188:189] offset:39168                  // 00000001270C: D89A9900 0000BC14
	ds_write_b64 v20, v[192:193] offset:6528                   // 000000012714: D89A1980 0000C014
	ds_write_b64 v20, v[196:197] offset:23936                  // 00000001271C: D89A5D80 0000C414
	ds_write_b64 v20, v[200:201] offset:41344                  // 000000012724: D89AA180 0000C814
	ds_write_b64 v20, v[204:205] offset:8704                   // 00000001272C: D89A2200 0000CC14
	ds_write_b64 v20, v[208:209] offset:26112                  // 000000012734: D89A6600 0000D014
	ds_write_b64 v20, v[212:213] offset:43520                  // 00000001273C: D89AAA00 0000D414
	ds_write_b64 v20, v[216:217] offset:10880                  // 000000012744: D89A2A80 0000D814
	ds_write_b64 v20, v[220:221] offset:28288                  // 00000001274C: D89A6E80 0000DC14
	ds_write_b64 v20, v[224:225] offset:45696                  // 000000012754: D89AB280 0000E014
	ds_write_b64 v20, v[228:229] offset:13056                  // 00000001275C: D89A3300 0000E414
	ds_write_b64 v20, v[232:233] offset:30464                  // 000000012764: D89A7700 0000E814
	ds_write_b64 v20, v[236:237] offset:47872                  // 00000001276C: D89ABB00 0000EC14
	ds_write_b64 v20, v[240:241] offset:15232                  // 000000012774: D89A3B80 0000F014
	ds_write_b64 v20, v[244:245] offset:32640                  // 00000001277C: D89A7F80 0000F414
	ds_write_b64 v20, v[248:249] offset:50048                  // 000000012784: D89AC380 0000F814
	s_waitcnt lgkmcnt(0)                                       // 00000001278C: BF8CC07F
	s_barrier                                                  // 000000012790: BF8A0000
	ds_read_b32 v156, v21                                      // 000000012794: D86C0000 9C000015
	ds_read_b32 v157, v21 offset:64                            // 00000001279C: D86C0040 9D000015
	ds_read_b32 v160, v21 offset:2176                          // 0000000127A4: D86C0880 A0000015
	ds_read_b32 v161, v21 offset:2240                          // 0000000127AC: D86C08C0 A1000015
	ds_read_b32 v164, v21 offset:4352                          // 0000000127B4: D86C1100 A4000015
	ds_read_b32 v165, v21 offset:4416                          // 0000000127BC: D86C1140 A5000015
	ds_read_b32 v168, v21 offset:6528                          // 0000000127C4: D86C1980 A8000015
	ds_read_b32 v169, v21 offset:6592                          // 0000000127CC: D86C19C0 A9000015
	ds_read_b32 v172, v21 offset:8704                          // 0000000127D4: D86C2200 AC000015
	ds_read_b32 v173, v21 offset:8768                          // 0000000127DC: D86C2240 AD000015
	ds_read_b32 v176, v21 offset:10880                         // 0000000127E4: D86C2A80 B0000015
	ds_read_b32 v177, v21 offset:10944                         // 0000000127EC: D86C2AC0 B1000015
	ds_read_b32 v180, v21 offset:13056                         // 0000000127F4: D86C3300 B4000015
	ds_read_b32 v181, v21 offset:13120                         // 0000000127FC: D86C3340 B5000015
	ds_read_b32 v184, v21 offset:15232                         // 000000012804: D86C3B80 B8000015
	ds_read_b32 v185, v21 offset:15296                         // 00000001280C: D86C3BC0 B9000015
	ds_read_b32 v188, v21 offset:17408                         // 000000012814: D86C4400 BC000015
	ds_read_b32 v189, v21 offset:17472                         // 00000001281C: D86C4440 BD000015
	ds_read_b32 v192, v21 offset:19584                         // 000000012824: D86C4C80 C0000015
	ds_read_b32 v193, v21 offset:19648                         // 00000001282C: D86C4CC0 C1000015
	ds_read_b32 v196, v21 offset:21760                         // 000000012834: D86C5500 C4000015
	ds_read_b32 v197, v21 offset:21824                         // 00000001283C: D86C5540 C5000015
	ds_read_b32 v200, v21 offset:23936                         // 000000012844: D86C5D80 C8000015
	ds_read_b32 v201, v21 offset:24000                         // 00000001284C: D86C5DC0 C9000015
	ds_read_b32 v204, v21 offset:26112                         // 000000012854: D86C6600 CC000015
	ds_read_b32 v205, v21 offset:26176                         // 00000001285C: D86C6640 CD000015
	ds_read_b32 v208, v21 offset:28288                         // 000000012864: D86C6E80 D0000015
	ds_read_b32 v209, v21 offset:28352                         // 00000001286C: D86C6EC0 D1000015
	ds_read_b32 v212, v21 offset:30464                         // 000000012874: D86C7700 D4000015
	ds_read_b32 v213, v21 offset:30528                         // 00000001287C: D86C7740 D5000015
	ds_read_b32 v216, v21 offset:32640                         // 000000012884: D86C7F80 D8000015
	ds_read_b32 v217, v21 offset:32704                         // 00000001288C: D86C7FC0 D9000015
	ds_read_b32 v220, v21 offset:34816                         // 000000012894: D86C8800 DC000015
	ds_read_b32 v221, v21 offset:34880                         // 00000001289C: D86C8840 DD000015
	ds_read_b32 v224, v21 offset:36992                         // 0000000128A4: D86C9080 E0000015
	ds_read_b32 v225, v21 offset:37056                         // 0000000128AC: D86C90C0 E1000015
	ds_read_b32 v228, v21 offset:39168                         // 0000000128B4: D86C9900 E4000015
	ds_read_b32 v229, v21 offset:39232                         // 0000000128BC: D86C9940 E5000015
	ds_read_b32 v232, v21 offset:41344                         // 0000000128C4: D86CA180 E8000015
	ds_read_b32 v233, v21 offset:41408                         // 0000000128CC: D86CA1C0 E9000015
	ds_read_b32 v236, v21 offset:43520                         // 0000000128D4: D86CAA00 EC000015
	ds_read_b32 v237, v21 offset:43584                         // 0000000128DC: D86CAA40 ED000015
	ds_read_b32 v240, v21 offset:45696                         // 0000000128E4: D86CB280 F0000015
	ds_read_b32 v241, v21 offset:45760                         // 0000000128EC: D86CB2C0 F1000015
	ds_read_b32 v244, v21 offset:47872                         // 0000000128F4: D86CBB00 F4000015
	ds_read_b32 v245, v21 offset:47936                         // 0000000128FC: D86CBB40 F5000015
	ds_read_b32 v248, v21 offset:50048                         // 000000012904: D86CC380 F8000015
	ds_read_b32 v249, v21 offset:50112                         // 00000001290C: D86CC3C0 F9000015
	s_mul_i32 s60, s65, 4                                      // 000000012914: 923C8441
	s_add_u32 s8, s60, s8                                      // 000000012918: 8008083C
	s_addc_u32 s9, 0, s9                                       // 00000001291C: 82090980
	s_waitcnt lgkmcnt(0)                                       // 000000012920: BF8CC07F
	v_mov_b32_e32 v7, 0                                        // 000000012924: 7E0E0280
	s_mov_b64 exec, s[36:37]                                   // 000000012928: BEFE0124
	v_mov_b32_e32 v6, v43                                      // 00000001292C: 7E0C032B
	s_mov_b64 s[60:61], 0                                      // 000000012930: BEBC0180
	v_readlane_b32 s82, v3, 0                                  // 000000012934: D2890052 00010103
	s_and_b32 s82, s82, 0xffffff                               // 00000001293C: 8652FF52 00FFFFFF
	s_cmp_lt_u32 s82, s66                                      // 000000012944: BF0A4252
	s_cselect_b32 s20, s36, s60                                // 000000012948: 85143C24
	v_readlane_b32 s82, v3, 1                                  // 00000001294C: D2890052 00010303
	s_and_b32 s82, s82, 0xffffff                               // 000000012954: 8652FF52 00FFFFFF
	s_cmp_lt_u32 s82, s66                                      // 00000001295C: BF0A4252
	s_cselect_b32 s21, s36, s60                                // 000000012960: 85153C24
	s_mov_b64 exec, s[20:21]                                   // 000000012964: BEFE0114
	global_atomic_add_f32 v6, v156, s[8:9]                     // 000000012968: DD348000 00089C06
	global_atomic_add_f32 v6, v160, s[8:9] offset:256          // 000000012970: DD348100 0008A006
	global_atomic_add_f32 v6, v164, s[8:9] offset:512          // 000000012978: DD348200 0008A406
	global_atomic_add_f32 v6, v168, s[8:9] offset:768          // 000000012980: DD348300 0008A806
	global_atomic_add_f32 v6, v172, s[8:9] offset:1024         // 000000012988: DD348400 0008AC06
	global_atomic_add_f32 v6, v176, s[8:9] offset:1280         // 000000012990: DD348500 0008B006
	global_atomic_add_f32 v6, v180, s[8:9] offset:1536         // 000000012998: DD348600 0008B406
	global_atomic_add_f32 v6, v184, s[8:9] offset:1792         // 0000000129A0: DD348700 0008B806
	s_mov_b64 exec, s[36:37]                                   // 0000000129A8: BEFE0124
	v_mov_b32_e32 v6, v44                                      // 0000000129AC: 7E0C032C
	s_mov_b64 s[60:61], 0                                      // 0000000129B0: BEBC0180
	v_readlane_b32 s82, v3, 2                                  // 0000000129B4: D2890052 00010503
	s_and_b32 s82, s82, 0xffffff                               // 0000000129BC: 8652FF52 00FFFFFF
	s_cmp_lt_u32 s82, s66                                      // 0000000129C4: BF0A4252
	s_cselect_b32 s20, s36, s60                                // 0000000129C8: 85143C24
	v_readlane_b32 s82, v3, 3                                  // 0000000129CC: D2890052 00010703
	s_and_b32 s82, s82, 0xffffff                               // 0000000129D4: 8652FF52 00FFFFFF
	s_cmp_lt_u32 s82, s66                                      // 0000000129DC: BF0A4252
	s_cselect_b32 s21, s36, s60                                // 0000000129E0: 85153C24
	s_mov_b64 exec, s[20:21]                                   // 0000000129E4: BEFE0114
	global_atomic_add_f32 v6, v157, s[8:9]                     // 0000000129E8: DD348000 00089D06
	global_atomic_add_f32 v6, v161, s[8:9] offset:256          // 0000000129F0: DD348100 0008A106
	global_atomic_add_f32 v6, v165, s[8:9] offset:512          // 0000000129F8: DD348200 0008A506
	global_atomic_add_f32 v6, v169, s[8:9] offset:768          // 000000012A00: DD348300 0008A906
	global_atomic_add_f32 v6, v173, s[8:9] offset:1024         // 000000012A08: DD348400 0008AD06
	global_atomic_add_f32 v6, v177, s[8:9] offset:1280         // 000000012A10: DD348500 0008B106
	global_atomic_add_f32 v6, v181, s[8:9] offset:1536         // 000000012A18: DD348600 0008B506
	global_atomic_add_f32 v6, v185, s[8:9] offset:1792         // 000000012A20: DD348700 0008B906
	s_mov_b64 exec, s[36:37]                                   // 000000012A28: BEFE0124
	v_mov_b32_e32 v6, v45                                      // 000000012A2C: 7E0C032D
	s_mov_b64 s[60:61], 0                                      // 000000012A30: BEBC0180
	v_readlane_b32 s82, v3, 4                                  // 000000012A34: D2890052 00010903
	s_and_b32 s82, s82, 0xffffff                               // 000000012A3C: 8652FF52 00FFFFFF
	s_cmp_lt_u32 s82, s66                                      // 000000012A44: BF0A4252
	s_cselect_b32 s20, s36, s60                                // 000000012A48: 85143C24
	v_readlane_b32 s82, v3, 5                                  // 000000012A4C: D2890052 00010B03
	s_and_b32 s82, s82, 0xffffff                               // 000000012A54: 8652FF52 00FFFFFF
	s_cmp_lt_u32 s82, s66                                      // 000000012A5C: BF0A4252
	s_cselect_b32 s21, s36, s60                                // 000000012A60: 85153C24
	s_mov_b64 exec, s[20:21]                                   // 000000012A64: BEFE0114
	global_atomic_add_f32 v6, v188, s[8:9]                     // 000000012A68: DD348000 0008BC06
	global_atomic_add_f32 v6, v192, s[8:9] offset:256          // 000000012A70: DD348100 0008C006
	global_atomic_add_f32 v6, v196, s[8:9] offset:512          // 000000012A78: DD348200 0008C406
	global_atomic_add_f32 v6, v200, s[8:9] offset:768          // 000000012A80: DD348300 0008C806
	global_atomic_add_f32 v6, v204, s[8:9] offset:1024         // 000000012A88: DD348400 0008CC06
	global_atomic_add_f32 v6, v208, s[8:9] offset:1280         // 000000012A90: DD348500 0008D006
	global_atomic_add_f32 v6, v212, s[8:9] offset:1536         // 000000012A98: DD348600 0008D406
	global_atomic_add_f32 v6, v216, s[8:9] offset:1792         // 000000012AA0: DD348700 0008D806
	s_mov_b64 exec, s[36:37]                                   // 000000012AA8: BEFE0124
	v_mov_b32_e32 v6, v46                                      // 000000012AAC: 7E0C032E
	s_mov_b64 s[60:61], 0                                      // 000000012AB0: BEBC0180
	v_readlane_b32 s82, v3, 6                                  // 000000012AB4: D2890052 00010D03
	s_and_b32 s82, s82, 0xffffff                               // 000000012ABC: 8652FF52 00FFFFFF
	s_cmp_lt_u32 s82, s66                                      // 000000012AC4: BF0A4252
	s_cselect_b32 s20, s36, s60                                // 000000012AC8: 85143C24
	v_readlane_b32 s82, v3, 7                                  // 000000012ACC: D2890052 00010F03
	s_and_b32 s82, s82, 0xffffff                               // 000000012AD4: 8652FF52 00FFFFFF
	s_cmp_lt_u32 s82, s66                                      // 000000012ADC: BF0A4252
	s_cselect_b32 s21, s36, s60                                // 000000012AE0: 85153C24
	s_mov_b64 exec, s[20:21]                                   // 000000012AE4: BEFE0114
	global_atomic_add_f32 v6, v189, s[8:9]                     // 000000012AE8: DD348000 0008BD06
	global_atomic_add_f32 v6, v193, s[8:9] offset:256          // 000000012AF0: DD348100 0008C106
	global_atomic_add_f32 v6, v197, s[8:9] offset:512          // 000000012AF8: DD348200 0008C506
	global_atomic_add_f32 v6, v201, s[8:9] offset:768          // 000000012B00: DD348300 0008C906
	global_atomic_add_f32 v6, v205, s[8:9] offset:1024         // 000000012B08: DD348400 0008CD06
	global_atomic_add_f32 v6, v209, s[8:9] offset:1280         // 000000012B10: DD348500 0008D106
	global_atomic_add_f32 v6, v213, s[8:9] offset:1536         // 000000012B18: DD348600 0008D506
	global_atomic_add_f32 v6, v217, s[8:9] offset:1792         // 000000012B20: DD348700 0008D906
	s_mov_b64 exec, s[36:37]                                   // 000000012B28: BEFE0124
	v_mov_b32_e32 v6, v47                                      // 000000012B2C: 7E0C032F
	s_mov_b64 s[60:61], 0                                      // 000000012B30: BEBC0180
	v_readlane_b32 s82, v3, 8                                  // 000000012B34: D2890052 00011103
	s_and_b32 s82, s82, 0xffffff                               // 000000012B3C: 8652FF52 00FFFFFF
	s_cmp_lt_u32 s82, s66                                      // 000000012B44: BF0A4252
	s_cselect_b32 s20, s36, s60                                // 000000012B48: 85143C24
	v_readlane_b32 s82, v3, 9                                  // 000000012B4C: D2890052 00011303
	s_and_b32 s82, s82, 0xffffff                               // 000000012B54: 8652FF52 00FFFFFF
	s_cmp_lt_u32 s82, s66                                      // 000000012B5C: BF0A4252
	s_cselect_b32 s21, s36, s60                                // 000000012B60: 85153C24
	s_mov_b64 exec, s[20:21]                                   // 000000012B64: BEFE0114
	global_atomic_add_f32 v6, v220, s[8:9]                     // 000000012B68: DD348000 0008DC06
	global_atomic_add_f32 v6, v224, s[8:9] offset:256          // 000000012B70: DD348100 0008E006
	global_atomic_add_f32 v6, v228, s[8:9] offset:512          // 000000012B78: DD348200 0008E406
	global_atomic_add_f32 v6, v232, s[8:9] offset:768          // 000000012B80: DD348300 0008E806
	global_atomic_add_f32 v6, v236, s[8:9] offset:1024         // 000000012B88: DD348400 0008EC06
	global_atomic_add_f32 v6, v240, s[8:9] offset:1280         // 000000012B90: DD348500 0008F006
	global_atomic_add_f32 v6, v244, s[8:9] offset:1536         // 000000012B98: DD348600 0008F406
	global_atomic_add_f32 v6, v248, s[8:9] offset:1792         // 000000012BA0: DD348700 0008F806
	s_mov_b64 exec, s[36:37]                                   // 000000012BA8: BEFE0124
	v_mov_b32_e32 v6, v48                                      // 000000012BAC: 7E0C0330
	s_mov_b64 s[60:61], 0                                      // 000000012BB0: BEBC0180
	v_readlane_b32 s82, v3, 10                                 // 000000012BB4: D2890052 00011503
	s_and_b32 s82, s82, 0xffffff                               // 000000012BBC: 8652FF52 00FFFFFF
	s_cmp_lt_u32 s82, s66                                      // 000000012BC4: BF0A4252
	s_cselect_b32 s20, s36, s60                                // 000000012BC8: 85143C24
	v_readlane_b32 s82, v3, 11                                 // 000000012BCC: D2890052 00011703
	s_and_b32 s82, s82, 0xffffff                               // 000000012BD4: 8652FF52 00FFFFFF
	s_cmp_lt_u32 s82, s66                                      // 000000012BDC: BF0A4252
	s_cselect_b32 s21, s36, s60                                // 000000012BE0: 85153C24
	s_mov_b64 exec, s[20:21]                                   // 000000012BE4: BEFE0114
	global_atomic_add_f32 v6, v221, s[8:9]                     // 000000012BE8: DD348000 0008DD06
	global_atomic_add_f32 v6, v225, s[8:9] offset:256          // 000000012BF0: DD348100 0008E106
	global_atomic_add_f32 v6, v229, s[8:9] offset:512          // 000000012BF8: DD348200 0008E506
	global_atomic_add_f32 v6, v233, s[8:9] offset:768          // 000000012C00: DD348300 0008E906
	global_atomic_add_f32 v6, v237, s[8:9] offset:1024         // 000000012C08: DD348400 0008ED06
	global_atomic_add_f32 v6, v241, s[8:9] offset:1280         // 000000012C10: DD348500 0008F106
	global_atomic_add_f32 v6, v245, s[8:9] offset:1536         // 000000012C18: DD348600 0008F506
	global_atomic_add_f32 v6, v249, s[8:9] offset:1792         // 000000012C20: DD348700 0008F906
	s_mov_b64 exec, s[36:37]                                   // 000000012C28: BEFE0124
	ds_write_b64 v20, v[158:159]                               // 000000012C2C: D89A0000 00009E14
	ds_write_b64 v20, v[162:163] offset:17408                  // 000000012C34: D89A4400 0000A214
	ds_write_b64 v20, v[166:167] offset:34816                  // 000000012C3C: D89A8800 0000A614
	ds_write_b64 v20, v[170:171] offset:2176                   // 000000012C44: D89A0880 0000AA14
	ds_write_b64 v20, v[174:175] offset:19584                  // 000000012C4C: D89A4C80 0000AE14
	ds_write_b64 v20, v[178:179] offset:36992                  // 000000012C54: D89A9080 0000B214
	ds_write_b64 v20, v[182:183] offset:4352                   // 000000012C5C: D89A1100 0000B614
	ds_write_b64 v20, v[186:187] offset:21760                  // 000000012C64: D89A5500 0000BA14
	ds_write_b64 v20, v[190:191] offset:39168                  // 000000012C6C: D89A9900 0000BE14
	ds_write_b64 v20, v[194:195] offset:6528                   // 000000012C74: D89A1980 0000C214
	ds_write_b64 v20, v[198:199] offset:23936                  // 000000012C7C: D89A5D80 0000C614
	ds_write_b64 v20, v[202:203] offset:41344                  // 000000012C84: D89AA180 0000CA14
	ds_write_b64 v20, v[206:207] offset:8704                   // 000000012C8C: D89A2200 0000CE14
	ds_write_b64 v20, v[210:211] offset:26112                  // 000000012C94: D89A6600 0000D214
	ds_write_b64 v20, v[214:215] offset:43520                  // 000000012C9C: D89AAA00 0000D614
	ds_write_b64 v20, v[218:219] offset:10880                  // 000000012CA4: D89A2A80 0000DA14
	ds_write_b64 v20, v[222:223] offset:28288                  // 000000012CAC: D89A6E80 0000DE14
	ds_write_b64 v20, v[226:227] offset:45696                  // 000000012CB4: D89AB280 0000E214
	ds_write_b64 v20, v[230:231] offset:13056                  // 000000012CBC: D89A3300 0000E614
	ds_write_b64 v20, v[234:235] offset:30464                  // 000000012CC4: D89A7700 0000EA14
	ds_write_b64 v20, v[238:239] offset:47872                  // 000000012CCC: D89ABB00 0000EE14
	ds_write_b64 v20, v[242:243] offset:15232                  // 000000012CD4: D89A3B80 0000F214
	ds_write_b64 v20, v[246:247] offset:32640                  // 000000012CDC: D89A7F80 0000F614
	ds_write_b64 v20, v[250:251] offset:50048                  // 000000012CE4: D89AC380 0000FA14
	s_waitcnt lgkmcnt(0)                                       // 000000012CEC: BF8CC07F
	s_barrier                                                  // 000000012CF0: BF8A0000
	ds_read_b32 v158, v21                                      // 000000012CF4: D86C0000 9E000015
	ds_read_b32 v159, v21 offset:64                            // 000000012CFC: D86C0040 9F000015
	ds_read_b32 v162, v21 offset:2176                          // 000000012D04: D86C0880 A2000015
	ds_read_b32 v163, v21 offset:2240                          // 000000012D0C: D86C08C0 A3000015
	ds_read_b32 v166, v21 offset:4352                          // 000000012D14: D86C1100 A6000015
	ds_read_b32 v167, v21 offset:4416                          // 000000012D1C: D86C1140 A7000015
	ds_read_b32 v170, v21 offset:6528                          // 000000012D24: D86C1980 AA000015
	ds_read_b32 v171, v21 offset:6592                          // 000000012D2C: D86C19C0 AB000015
	ds_read_b32 v174, v21 offset:8704                          // 000000012D34: D86C2200 AE000015
	ds_read_b32 v175, v21 offset:8768                          // 000000012D3C: D86C2240 AF000015
	ds_read_b32 v178, v21 offset:10880                         // 000000012D44: D86C2A80 B2000015
	ds_read_b32 v179, v21 offset:10944                         // 000000012D4C: D86C2AC0 B3000015
	ds_read_b32 v182, v21 offset:13056                         // 000000012D54: D86C3300 B6000015
	ds_read_b32 v183, v21 offset:13120                         // 000000012D5C: D86C3340 B7000015
	ds_read_b32 v186, v21 offset:15232                         // 000000012D64: D86C3B80 BA000015
	ds_read_b32 v187, v21 offset:15296                         // 000000012D6C: D86C3BC0 BB000015
	ds_read_b32 v190, v21 offset:17408                         // 000000012D74: D86C4400 BE000015
	ds_read_b32 v191, v21 offset:17472                         // 000000012D7C: D86C4440 BF000015
	ds_read_b32 v194, v21 offset:19584                         // 000000012D84: D86C4C80 C2000015
	ds_read_b32 v195, v21 offset:19648                         // 000000012D8C: D86C4CC0 C3000015
	ds_read_b32 v198, v21 offset:21760                         // 000000012D94: D86C5500 C6000015
	ds_read_b32 v199, v21 offset:21824                         // 000000012D9C: D86C5540 C7000015
	ds_read_b32 v202, v21 offset:23936                         // 000000012DA4: D86C5D80 CA000015
	ds_read_b32 v203, v21 offset:24000                         // 000000012DAC: D86C5DC0 CB000015
	ds_read_b32 v206, v21 offset:26112                         // 000000012DB4: D86C6600 CE000015
	ds_read_b32 v207, v21 offset:26176                         // 000000012DBC: D86C6640 CF000015
	ds_read_b32 v210, v21 offset:28288                         // 000000012DC4: D86C6E80 D2000015
	ds_read_b32 v211, v21 offset:28352                         // 000000012DCC: D86C6EC0 D3000015
	ds_read_b32 v214, v21 offset:30464                         // 000000012DD4: D86C7700 D6000015
	ds_read_b32 v215, v21 offset:30528                         // 000000012DDC: D86C7740 D7000015
	ds_read_b32 v218, v21 offset:32640                         // 000000012DE4: D86C7F80 DA000015
	ds_read_b32 v219, v21 offset:32704                         // 000000012DEC: D86C7FC0 DB000015
	ds_read_b32 v222, v21 offset:34816                         // 000000012DF4: D86C8800 DE000015
	ds_read_b32 v223, v21 offset:34880                         // 000000012DFC: D86C8840 DF000015
	ds_read_b32 v226, v21 offset:36992                         // 000000012E04: D86C9080 E2000015
	ds_read_b32 v227, v21 offset:37056                         // 000000012E0C: D86C90C0 E3000015
	ds_read_b32 v230, v21 offset:39168                         // 000000012E14: D86C9900 E6000015
	ds_read_b32 v231, v21 offset:39232                         // 000000012E1C: D86C9940 E7000015
	ds_read_b32 v234, v21 offset:41344                         // 000000012E24: D86CA180 EA000015
	ds_read_b32 v235, v21 offset:41408                         // 000000012E2C: D86CA1C0 EB000015
	ds_read_b32 v238, v21 offset:43520                         // 000000012E34: D86CAA00 EE000015
	ds_read_b32 v239, v21 offset:43584                         // 000000012E3C: D86CAA40 EF000015
	ds_read_b32 v242, v21 offset:45696                         // 000000012E44: D86CB280 F2000015
	ds_read_b32 v243, v21 offset:45760                         // 000000012E4C: D86CB2C0 F3000015
	ds_read_b32 v246, v21 offset:47872                         // 000000012E54: D86CBB00 F6000015
	ds_read_b32 v247, v21 offset:47936                         // 000000012E5C: D86CBB40 F7000015
	ds_read_b32 v250, v21 offset:50048                         // 000000012E64: D86CC380 FA000015
	ds_read_b32 v251, v21 offset:50112                         // 000000012E6C: D86CC3C0 FB000015
	s_waitcnt lgkmcnt(0)                                       // 000000012E74: BF8CC07F
	v_mov_b32_e32 v7, 0                                        // 000000012E78: 7E0E0280
	s_mov_b64 exec, s[36:37]                                   // 000000012E7C: BEFE0124
	v_mov_b32_e32 v6, v43                                      // 000000012E80: 7E0C032B
	s_mov_b64 s[60:61], 0                                      // 000000012E84: BEBC0180
	v_readlane_b32 s82, v3, 0                                  // 000000012E88: D2890052 00010103
	s_and_b32 s82, s82, 0xffffff                               // 000000012E90: 8652FF52 00FFFFFF
	s_cmp_lt_u32 s82, s66                                      // 000000012E98: BF0A4252
	s_cselect_b32 s20, s36, s60                                // 000000012E9C: 85143C24
	v_readlane_b32 s82, v3, 1                                  // 000000012EA0: D2890052 00010303
	s_and_b32 s82, s82, 0xffffff                               // 000000012EA8: 8652FF52 00FFFFFF
	s_cmp_lt_u32 s82, s66                                      // 000000012EB0: BF0A4252
	s_cselect_b32 s21, s36, s60                                // 000000012EB4: 85153C24
	s_mov_b64 exec, s[20:21]                                   // 000000012EB8: BEFE0114
	global_atomic_add_f32 v6, v158, s[8:9] offset:8            // 000000012EBC: DD348008 00089E06
	global_atomic_add_f32 v6, v162, s[8:9] offset:264          // 000000012EC4: DD348108 0008A206
	global_atomic_add_f32 v6, v166, s[8:9] offset:520          // 000000012ECC: DD348208 0008A606
	global_atomic_add_f32 v6, v170, s[8:9] offset:776          // 000000012ED4: DD348308 0008AA06
	global_atomic_add_f32 v6, v174, s[8:9] offset:1032         // 000000012EDC: DD348408 0008AE06
	global_atomic_add_f32 v6, v178, s[8:9] offset:1288         // 000000012EE4: DD348508 0008B206
	global_atomic_add_f32 v6, v182, s[8:9] offset:1544         // 000000012EEC: DD348608 0008B606
	global_atomic_add_f32 v6, v186, s[8:9] offset:1800         // 000000012EF4: DD348708 0008BA06
	s_mov_b64 exec, s[36:37]                                   // 000000012EFC: BEFE0124
	v_mov_b32_e32 v6, v44                                      // 000000012F00: 7E0C032C
	s_mov_b64 s[60:61], 0                                      // 000000012F04: BEBC0180
	v_readlane_b32 s82, v3, 2                                  // 000000012F08: D2890052 00010503
	s_and_b32 s82, s82, 0xffffff                               // 000000012F10: 8652FF52 00FFFFFF
	s_cmp_lt_u32 s82, s66                                      // 000000012F18: BF0A4252
	s_cselect_b32 s20, s36, s60                                // 000000012F1C: 85143C24
	v_readlane_b32 s82, v3, 3                                  // 000000012F20: D2890052 00010703
	s_and_b32 s82, s82, 0xffffff                               // 000000012F28: 8652FF52 00FFFFFF
	s_cmp_lt_u32 s82, s66                                      // 000000012F30: BF0A4252
	s_cselect_b32 s21, s36, s60                                // 000000012F34: 85153C24
	s_mov_b64 exec, s[20:21]                                   // 000000012F38: BEFE0114
	global_atomic_add_f32 v6, v159, s[8:9] offset:8            // 000000012F3C: DD348008 00089F06
	global_atomic_add_f32 v6, v163, s[8:9] offset:264          // 000000012F44: DD348108 0008A306
	global_atomic_add_f32 v6, v167, s[8:9] offset:520          // 000000012F4C: DD348208 0008A706
	global_atomic_add_f32 v6, v171, s[8:9] offset:776          // 000000012F54: DD348308 0008AB06
	global_atomic_add_f32 v6, v175, s[8:9] offset:1032         // 000000012F5C: DD348408 0008AF06
	global_atomic_add_f32 v6, v179, s[8:9] offset:1288         // 000000012F64: DD348508 0008B306
	global_atomic_add_f32 v6, v183, s[8:9] offset:1544         // 000000012F6C: DD348608 0008B706
	global_atomic_add_f32 v6, v187, s[8:9] offset:1800         // 000000012F74: DD348708 0008BB06
	s_mov_b64 exec, s[36:37]                                   // 000000012F7C: BEFE0124
	v_mov_b32_e32 v6, v45                                      // 000000012F80: 7E0C032D
	s_mov_b64 s[60:61], 0                                      // 000000012F84: BEBC0180
	v_readlane_b32 s82, v3, 4                                  // 000000012F88: D2890052 00010903
	s_and_b32 s82, s82, 0xffffff                               // 000000012F90: 8652FF52 00FFFFFF
	s_cmp_lt_u32 s82, s66                                      // 000000012F98: BF0A4252
	s_cselect_b32 s20, s36, s60                                // 000000012F9C: 85143C24
	v_readlane_b32 s82, v3, 5                                  // 000000012FA0: D2890052 00010B03
	s_and_b32 s82, s82, 0xffffff                               // 000000012FA8: 8652FF52 00FFFFFF
	s_cmp_lt_u32 s82, s66                                      // 000000012FB0: BF0A4252
	s_cselect_b32 s21, s36, s60                                // 000000012FB4: 85153C24
	s_mov_b64 exec, s[20:21]                                   // 000000012FB8: BEFE0114
	global_atomic_add_f32 v6, v190, s[8:9] offset:8            // 000000012FBC: DD348008 0008BE06
	global_atomic_add_f32 v6, v194, s[8:9] offset:264          // 000000012FC4: DD348108 0008C206
	global_atomic_add_f32 v6, v198, s[8:9] offset:520          // 000000012FCC: DD348208 0008C606
	global_atomic_add_f32 v6, v202, s[8:9] offset:776          // 000000012FD4: DD348308 0008CA06
	global_atomic_add_f32 v6, v206, s[8:9] offset:1032         // 000000012FDC: DD348408 0008CE06
	global_atomic_add_f32 v6, v210, s[8:9] offset:1288         // 000000012FE4: DD348508 0008D206
	global_atomic_add_f32 v6, v214, s[8:9] offset:1544         // 000000012FEC: DD348608 0008D606
	global_atomic_add_f32 v6, v218, s[8:9] offset:1800         // 000000012FF4: DD348708 0008DA06
	s_mov_b64 exec, s[36:37]                                   // 000000012FFC: BEFE0124
	v_mov_b32_e32 v6, v46                                      // 000000013000: 7E0C032E
	s_mov_b64 s[60:61], 0                                      // 000000013004: BEBC0180
	v_readlane_b32 s82, v3, 6                                  // 000000013008: D2890052 00010D03
	s_and_b32 s82, s82, 0xffffff                               // 000000013010: 8652FF52 00FFFFFF
	s_cmp_lt_u32 s82, s66                                      // 000000013018: BF0A4252
	s_cselect_b32 s20, s36, s60                                // 00000001301C: 85143C24
	v_readlane_b32 s82, v3, 7                                  // 000000013020: D2890052 00010F03
	s_and_b32 s82, s82, 0xffffff                               // 000000013028: 8652FF52 00FFFFFF
	s_cmp_lt_u32 s82, s66                                      // 000000013030: BF0A4252
	s_cselect_b32 s21, s36, s60                                // 000000013034: 85153C24
	s_mov_b64 exec, s[20:21]                                   // 000000013038: BEFE0114
	global_atomic_add_f32 v6, v191, s[8:9] offset:8            // 00000001303C: DD348008 0008BF06
	global_atomic_add_f32 v6, v195, s[8:9] offset:264          // 000000013044: DD348108 0008C306
	global_atomic_add_f32 v6, v199, s[8:9] offset:520          // 00000001304C: DD348208 0008C706
	global_atomic_add_f32 v6, v203, s[8:9] offset:776          // 000000013054: DD348308 0008CB06
	global_atomic_add_f32 v6, v207, s[8:9] offset:1032         // 00000001305C: DD348408 0008CF06
	global_atomic_add_f32 v6, v211, s[8:9] offset:1288         // 000000013064: DD348508 0008D306
	global_atomic_add_f32 v6, v215, s[8:9] offset:1544         // 00000001306C: DD348608 0008D706
	global_atomic_add_f32 v6, v219, s[8:9] offset:1800         // 000000013074: DD348708 0008DB06
	s_mov_b64 exec, s[36:37]                                   // 00000001307C: BEFE0124
	v_mov_b32_e32 v6, v47                                      // 000000013080: 7E0C032F
	s_mov_b64 s[60:61], 0                                      // 000000013084: BEBC0180
	v_readlane_b32 s82, v3, 8                                  // 000000013088: D2890052 00011103
	s_and_b32 s82, s82, 0xffffff                               // 000000013090: 8652FF52 00FFFFFF
	s_cmp_lt_u32 s82, s66                                      // 000000013098: BF0A4252
	s_cselect_b32 s20, s36, s60                                // 00000001309C: 85143C24
	v_readlane_b32 s82, v3, 9                                  // 0000000130A0: D2890052 00011303
	s_and_b32 s82, s82, 0xffffff                               // 0000000130A8: 8652FF52 00FFFFFF
	s_cmp_lt_u32 s82, s66                                      // 0000000130B0: BF0A4252
	s_cselect_b32 s21, s36, s60                                // 0000000130B4: 85153C24
	s_mov_b64 exec, s[20:21]                                   // 0000000130B8: BEFE0114
	global_atomic_add_f32 v6, v222, s[8:9] offset:8            // 0000000130BC: DD348008 0008DE06
	global_atomic_add_f32 v6, v226, s[8:9] offset:264          // 0000000130C4: DD348108 0008E206
	global_atomic_add_f32 v6, v230, s[8:9] offset:520          // 0000000130CC: DD348208 0008E606
	global_atomic_add_f32 v6, v234, s[8:9] offset:776          // 0000000130D4: DD348308 0008EA06
	global_atomic_add_f32 v6, v238, s[8:9] offset:1032         // 0000000130DC: DD348408 0008EE06
	global_atomic_add_f32 v6, v242, s[8:9] offset:1288         // 0000000130E4: DD348508 0008F206
	global_atomic_add_f32 v6, v246, s[8:9] offset:1544         // 0000000130EC: DD348608 0008F606
	global_atomic_add_f32 v6, v250, s[8:9] offset:1800         // 0000000130F4: DD348708 0008FA06
	s_mov_b64 exec, s[36:37]                                   // 0000000130FC: BEFE0124
	v_mov_b32_e32 v6, v48                                      // 000000013100: 7E0C0330
	s_mov_b64 s[60:61], 0                                      // 000000013104: BEBC0180
	v_readlane_b32 s82, v3, 10                                 // 000000013108: D2890052 00011503
	s_and_b32 s82, s82, 0xffffff                               // 000000013110: 8652FF52 00FFFFFF
	s_cmp_lt_u32 s82, s66                                      // 000000013118: BF0A4252
	s_cselect_b32 s20, s36, s60                                // 00000001311C: 85143C24
	v_readlane_b32 s82, v3, 11                                 // 000000013120: D2890052 00011703
	s_and_b32 s82, s82, 0xffffff                               // 000000013128: 8652FF52 00FFFFFF
	s_cmp_lt_u32 s82, s66                                      // 000000013130: BF0A4252
	s_cselect_b32 s21, s36, s60                                // 000000013134: 85153C24
	s_mov_b64 exec, s[20:21]                                   // 000000013138: BEFE0114
	global_atomic_add_f32 v6, v223, s[8:9] offset:8            // 00000001313C: DD348008 0008DF06
	global_atomic_add_f32 v6, v227, s[8:9] offset:264          // 000000013144: DD348108 0008E306
	global_atomic_add_f32 v6, v231, s[8:9] offset:520          // 00000001314C: DD348208 0008E706
	global_atomic_add_f32 v6, v235, s[8:9] offset:776          // 000000013154: DD348308 0008EB06
	global_atomic_add_f32 v6, v239, s[8:9] offset:1032         // 00000001315C: DD348408 0008EF06
	global_atomic_add_f32 v6, v243, s[8:9] offset:1288         // 000000013164: DD348508 0008F306
	global_atomic_add_f32 v6, v247, s[8:9] offset:1544         // 00000001316C: DD348608 0008F706
	global_atomic_add_f32 v6, v251, s[8:9] offset:1800         // 000000013174: DD348708 0008FB06
	s_mov_b64 exec, s[36:37]                                   // 00000001317C: BEFE0124
	s_branch label_41E4                                        // 000000013180: BF820000

0000000000013184 <label_41E4>:
	s_waitcnt vmcnt(0) expcnt(0) lgkmcnt(0)                    // 000000013184: BF8C0000
	s_endpgm                                                   // 000000013188: BF810000
